;; amdgpu-corpus repo=ROCm/rocFFT kind=compiled arch=gfx1201 opt=O3
	.text
	.amdgcn_target "amdgcn-amd-amdhsa--gfx1201"
	.amdhsa_code_object_version 6
	.protected	bluestein_single_back_len1274_dim1_sp_op_CI_CI ; -- Begin function bluestein_single_back_len1274_dim1_sp_op_CI_CI
	.globl	bluestein_single_back_len1274_dim1_sp_op_CI_CI
	.p2align	8
	.type	bluestein_single_back_len1274_dim1_sp_op_CI_CI,@function
bluestein_single_back_len1274_dim1_sp_op_CI_CI: ; @bluestein_single_back_len1274_dim1_sp_op_CI_CI
; %bb.0:
	s_load_b128 s[8:11], s[0:1], 0x28
	v_mul_u32_u24_e32 v1, 0x169, v0
	s_mov_b32 s2, exec_lo
	v_mov_b32_e32 v73, 0
	s_delay_alu instid0(VALU_DEP_2) | instskip(NEXT) | instid1(VALU_DEP_1)
	v_lshrrev_b32_e32 v1, 16, v1
	v_add_nc_u32_e32 v72, ttmp9, v1
	s_wait_kmcnt 0x0
	s_delay_alu instid0(VALU_DEP_1)
	v_cmpx_gt_u64_e64 s[8:9], v[72:73]
	s_cbranch_execz .LBB0_23
; %bb.1:
	s_clause 0x1
	s_load_b128 s[4:7], s[0:1], 0x18
	s_load_b64 s[16:17], s[0:1], 0x0
	v_mul_lo_u16 v1, 0xb6, v1
	s_movk_i32 s2, 0xfe39
	s_mov_b32 s3, -1
	s_delay_alu instid0(VALU_DEP_1) | instskip(NEXT) | instid1(VALU_DEP_1)
	v_sub_nc_u16 v18, v0, v1
	v_and_b32_e32 v98, 0xffff, v18
	s_wait_kmcnt 0x0
	s_load_b128 s[12:15], s[4:5], 0x0
	s_wait_kmcnt 0x0
	v_mad_co_u64_u32 v[0:1], null, s14, v72, 0
	v_mad_co_u64_u32 v[2:3], null, s12, v98, 0
	s_mul_u64 s[4:5], s[12:13], 0x27d
	s_mul_u64 s[2:3], s[12:13], s[2:3]
	s_delay_alu instid0(SALU_CYCLE_1) | instskip(NEXT) | instid1(VALU_DEP_1)
	s_lshl_b64 s[2:3], s[2:3], 3
	v_mad_co_u64_u32 v[4:5], null, s15, v72, v[1:2]
	s_delay_alu instid0(VALU_DEP_1) | instskip(NEXT) | instid1(VALU_DEP_3)
	v_mov_b32_e32 v1, v4
	v_mad_co_u64_u32 v[5:6], null, s13, v98, v[3:4]
	v_lshlrev_b32_e32 v97, 3, v98
	s_delay_alu instid0(VALU_DEP_3)
	v_lshlrev_b64_e32 v[0:1], 3, v[0:1]
	global_load_b64 v[75:76], v97, s[16:17] offset:5096
	v_mov_b32_e32 v3, v5
	s_clause 0x1
	global_load_b64 v[85:86], v97, s[16:17]
	global_load_b64 v[77:78], v97, s[16:17] offset:1456
	v_add_co_u32 v0, vcc_lo, s10, v0
	v_add_co_ci_u32_e32 v1, vcc_lo, s11, v1, vcc_lo
	v_lshlrev_b64_e32 v[2:3], 3, v[2:3]
	s_lshl_b64 s[10:11], s[4:5], 3
	s_delay_alu instid0(VALU_DEP_1) | instskip(SKIP_1) | instid1(VALU_DEP_2)
	v_add_co_u32 v0, vcc_lo, v0, v2
	s_wait_alu 0xfffd
	v_add_co_ci_u32_e32 v1, vcc_lo, v1, v3, vcc_lo
	s_wait_alu 0xfffe
	s_delay_alu instid0(VALU_DEP_2)
	v_add_co_u32 v2, vcc_lo, v0, s10
	global_load_b64 v[4:5], v[0:1], off
	s_wait_alu 0xfffd
	v_add_co_ci_u32_e32 v3, vcc_lo, s11, v1, vcc_lo
	v_add_co_u32 v0, vcc_lo, v2, s2
	s_wait_alu 0xfffd
	s_delay_alu instid0(VALU_DEP_2) | instskip(NEXT) | instid1(VALU_DEP_2)
	v_add_co_ci_u32_e32 v1, vcc_lo, s3, v3, vcc_lo
	v_add_co_u32 v6, vcc_lo, v0, s10
	s_wait_alu 0xfffd
	s_delay_alu instid0(VALU_DEP_2) | instskip(NEXT) | instid1(VALU_DEP_2)
	v_add_co_ci_u32_e32 v7, vcc_lo, s11, v1, vcc_lo
	v_add_co_u32 v10, vcc_lo, v6, s2
	s_wait_alu 0xfffd
	s_delay_alu instid0(VALU_DEP_2) | instskip(SKIP_2) | instid1(VALU_DEP_1)
	v_add_co_ci_u32_e32 v11, vcc_lo, s3, v7, vcc_lo
	s_wait_loadcnt 0x0
	v_mul_f32_e32 v14, v5, v86
	v_fmac_f32_e32 v14, v4, v85
	global_load_b64 v[79:80], v97, s[16:17] offset:6552
	s_clause 0x2
	global_load_b64 v[2:3], v[2:3], off
	global_load_b64 v[8:9], v[0:1], off
	;; [unrolled: 1-line block ×3, first 2 shown]
	v_add_co_u32 v0, vcc_lo, v10, s10
	s_wait_alu 0xfffd
	v_add_co_ci_u32_e32 v1, vcc_lo, s11, v11, vcc_lo
	global_load_b64 v[81:82], v97, s[16:17] offset:2912
	global_load_b64 v[10:11], v[10:11], off
	global_load_b64 v[83:84], v97, s[16:17] offset:8008
	global_load_b64 v[12:13], v[0:1], off
	s_load_b64 s[8:9], s[0:1], 0x38
	s_load_b128 s[4:7], s[6:7], 0x0
	v_mul_f32_e32 v15, v4, v86
	v_add_co_u32 v73, s12, s16, v97
	s_wait_alu 0xf1ff
	v_add_co_ci_u32_e64 v74, null, s17, 0, s12
	v_cmp_gt_u16_e32 vcc_lo, 0x5b, v18
	s_wait_loadcnt 0x6
	v_mul_f32_e32 v4, v3, v76
	v_fma_f32 v15, v5, v85, -v15
	s_wait_loadcnt 0x5
	v_dual_mul_f32 v5, v2, v76 :: v_dual_mul_f32 v16, v9, v78
	s_delay_alu instid0(VALU_DEP_3) | instskip(SKIP_2) | instid1(VALU_DEP_3)
	v_dual_mul_f32 v17, v8, v78 :: v_dual_fmac_f32 v4, v2, v75
	s_wait_loadcnt 0x4
	v_mul_f32_e32 v2, v7, v80
	v_fma_f32 v5, v3, v75, -v5
	v_dual_mul_f32 v3, v6, v80 :: v_dual_fmac_f32 v16, v8, v77
	v_fma_f32 v17, v9, v77, -v17
	s_wait_loadcnt 0x2
	v_mul_f32_e32 v9, v10, v82
	s_wait_loadcnt 0x0
	v_dual_fmac_f32 v2, v6, v79 :: v_dual_mul_f32 v19, v12, v84
	v_mul_f32_e32 v6, v11, v82
	v_mul_f32_e32 v8, v13, v84
	v_fma_f32 v3, v7, v79, -v3
	v_fma_f32 v7, v11, v81, -v9
	;; [unrolled: 1-line block ×3, first 2 shown]
	v_fmac_f32_e32 v6, v10, v81
	v_fmac_f32_e32 v8, v12, v83
	v_add_nc_u32_e32 v10, 0x1800, v97
	ds_store_b64 v97, v[4:5] offset:5096
	ds_store_2addr_b64 v97, v[14:15], v[16:17] offset1:182
	ds_store_b64 v97, v[6:7] offset:2912
	ds_store_2addr_b64 v10, v[2:3], v[8:9] offset0:51 offset1:233
	s_and_saveexec_b32 s12, vcc_lo
	s_cbranch_execz .LBB0_3
; %bb.2:
	v_add_co_u32 v0, s2, v0, s2
	s_wait_alu 0xf1ff
	v_add_co_ci_u32_e64 v1, s2, s3, v1, s2
	s_delay_alu instid0(VALU_DEP_2) | instskip(SKIP_1) | instid1(VALU_DEP_2)
	v_add_co_u32 v2, s2, v0, s10
	s_wait_alu 0xf1ff
	v_add_co_ci_u32_e64 v3, s2, s11, v1, s2
	global_load_b64 v[0:1], v[0:1], off
	s_clause 0x1
	global_load_b64 v[4:5], v[73:74], off offset:4368
	global_load_b64 v[6:7], v[73:74], off offset:9464
	global_load_b64 v[2:3], v[2:3], off
	s_wait_loadcnt 0x2
	v_mul_f32_e32 v8, v1, v5
	v_mul_f32_e32 v9, v0, v5
	s_wait_loadcnt 0x0
	v_mul_f32_e32 v5, v3, v7
	s_delay_alu instid0(VALU_DEP_3) | instskip(NEXT) | instid1(VALU_DEP_3)
	v_dual_mul_f32 v7, v2, v7 :: v_dual_fmac_f32 v8, v0, v4
	v_fma_f32 v9, v1, v4, -v9
	s_delay_alu instid0(VALU_DEP_3) | instskip(NEXT) | instid1(VALU_DEP_3)
	v_fmac_f32_e32 v5, v2, v6
	v_fma_f32 v6, v3, v6, -v7
	ds_store_b64 v97, v[8:9] offset:4368
	ds_store_b64 v97, v[5:6] offset:9464
.LBB0_3:
	s_wait_alu 0xfffe
	s_or_b32 exec_lo, exec_lo, s12
	v_add_nc_u32_e32 v4, 0x1200, v97
	global_wb scope:SCOPE_SE
	s_wait_dscnt 0x0
	s_wait_kmcnt 0x0
	s_barrier_signal -1
	s_barrier_wait -1
	global_inv scope:SCOPE_SE
	ds_load_2addr_b64 v[0:3], v97 offset1:182
	ds_load_2addr_b64 v[4:7], v4 offset0:61 offset1:243
	ds_load_b64 v[8:9], v97 offset:2912
	ds_load_b64 v[12:13], v97 offset:8008
                                        ; implicit-def: $vgpr14
                                        ; implicit-def: $vgpr10
	s_and_saveexec_b32 s2, vcc_lo
	s_cbranch_execz .LBB0_5
; %bb.4:
	ds_load_b64 v[10:11], v97 offset:4368
	ds_load_b64 v[14:15], v97 offset:9464
.LBB0_5:
	s_wait_alu 0xfffe
	s_or_b32 exec_lo, exec_lo, s2
	s_load_b64 s[2:3], s[0:1], 0x8
	s_wait_dscnt 0x2
	v_dual_sub_f32 v26, v0, v4 :: v_dual_sub_f32 v31, v3, v7
	v_dual_sub_f32 v27, v1, v5 :: v_dual_lshlrev_b32 v56, 4, v98
	s_wait_dscnt 0x0
	v_dual_sub_f32 v30, v2, v6 :: v_dual_sub_f32 v35, v9, v13
	s_delay_alu instid0(VALU_DEP_3) | instskip(SKIP_3) | instid1(VALU_DEP_2)
	v_fma_f32 v24, v0, 2.0, -v26
	v_lshlrev_b16 v0, 1, v98
	v_add_co_u32 v4, null, 0x222, v98
	v_dual_sub_f32 v34, v8, v12 :: v_dual_sub_f32 v39, v11, v15
	v_dual_sub_f32 v38, v10, v14 :: v_dual_lshlrev_b32 v101, 4, v4
	s_delay_alu instid0(VALU_DEP_4)
	v_and_b32_e32 v0, 0xffff, v0
	v_fma_f32 v25, v1, 2.0, -v27
	v_fma_f32 v28, v2, 2.0, -v30
	;; [unrolled: 1-line block ×7, first 2 shown]
	v_lshlrev_b32_e32 v102, 3, v0
	global_wb scope:SCOPE_SE
	s_wait_kmcnt 0x0
	s_barrier_signal -1
	s_barrier_wait -1
	global_inv scope:SCOPE_SE
	ds_store_b128 v102, v[24:27]
	ds_store_b128 v56, v[28:31] offset:2912
	ds_store_b128 v56, v[32:35] offset:5824
	s_and_saveexec_b32 s0, vcc_lo
	s_cbranch_execz .LBB0_7
; %bb.6:
	ds_store_b128 v101, v[36:39]
.LBB0_7:
	s_wait_alu 0xfffe
	s_or_b32 exec_lo, exec_lo, s0
	v_cmp_gt_u16_e64 s0, 0x62, v98
	global_wb scope:SCOPE_SE
	s_wait_dscnt 0x0
	s_barrier_signal -1
	s_barrier_wait -1
	global_inv scope:SCOPE_SE
                                        ; implicit-def: $vgpr44
                                        ; implicit-def: $vgpr40
                                        ; implicit-def: $vgpr48
	s_and_saveexec_b32 s1, s0
	s_cbranch_execz .LBB0_9
; %bb.8:
	v_add_nc_u32_e32 v0, 0x400, v97
	v_add_nc_u32_e32 v1, 0x800, v97
	;; [unrolled: 1-line block ×5, first 2 shown]
	ds_load_2addr_b64 v[24:27], v97 offset1:98
	ds_load_2addr_b64 v[28:31], v0 offset0:68 offset1:166
	ds_load_2addr_b64 v[32:35], v1 offset0:136 offset1:234
	ds_load_2addr_b64 v[36:39], v2 offset0:76 offset1:174
	ds_load_2addr_b64 v[44:47], v3 offset0:16 offset1:114
	ds_load_2addr_b64 v[40:43], v4 offset0:84 offset1:182
	ds_load_b64 v[48:49], v97 offset:9408
.LBB0_9:
	s_wait_alu 0xfffe
	s_or_b32 exec_lo, exec_lo, s1
	v_and_b32_e32 v99, 1, v98
	s_delay_alu instid0(VALU_DEP_1) | instskip(NEXT) | instid1(VALU_DEP_1)
	v_mul_u32_u24_e32 v0, 12, v99
	v_lshlrev_b32_e32 v20, 3, v0
	s_clause 0x5
	global_load_b128 v[12:15], v20, s[2:3]
	global_load_b128 v[8:11], v20, s[2:3] offset:16
	global_load_b128 v[4:7], v20, s[2:3] offset:32
	;; [unrolled: 1-line block ×5, first 2 shown]
	global_wb scope:SCOPE_SE
	s_wait_loadcnt_dscnt 0x0
	s_barrier_signal -1
	s_barrier_wait -1
	global_inv scope:SCOPE_SE
	v_dual_mul_f32 v51, v29, v15 :: v_dual_mul_f32 v68, v26, v13
	v_dual_mul_f32 v67, v28, v15 :: v_dual_mul_f32 v50, v27, v13
	;; [unrolled: 1-line block ×9, first 2 shown]
	v_dual_fmac_f32 v68, v27, v12 :: v_dual_fmac_f32 v67, v29, v14
	v_dual_fmac_f32 v59, v47, v16 :: v_dual_fmac_f32 v58, v49, v22
	v_dual_mul_f32 v64, v34, v5 :: v_dual_mul_f32 v63, v36, v7
	v_dual_mul_f32 v62, v38, v1 :: v_dual_mul_f32 v61, v44, v3
	;; [unrolled: 1-line block ×3, first 2 shown]
	v_fma_f32 v91, v26, v12, -v50
	v_fma_f32 v71, v28, v14, -v51
	;; [unrolled: 1-line block ×3, first 2 shown]
	v_dual_fmac_f32 v66, v31, v8 :: v_dual_fmac_f32 v65, v33, v10
	v_fma_f32 v69, v32, v10, -v53
	v_fma_f32 v33, v34, v4, -v54
	;; [unrolled: 1-line block ×6, first 2 shown]
	v_dual_fmac_f32 v60, v41, v18 :: v_dual_fmac_f32 v57, v43, v20
	v_fma_f32 v27, v42, v20, -v92
	v_dual_sub_f32 v49, v68, v58 :: v_dual_fmac_f32 v64, v35, v4
	v_dual_fmac_f32 v63, v37, v6 :: v_dual_fmac_f32 v62, v39, v0
	v_fmac_f32_e32 v61, v45, v2
	v_fma_f32 v29, v46, v16, -v89
	v_fma_f32 v28, v40, v18, -v90
	v_add_f32_e32 v93, v91, v26
	v_dual_sub_f32 v48, v91, v26 :: v_dual_add_f32 v113, v66, v60
	v_add_f32_e32 v106, v67, v57
	v_dual_sub_f32 v50, v71, v27 :: v_dual_sub_f32 v53, v66, v60
	v_dual_sub_f32 v51, v67, v57 :: v_dual_sub_f32 v52, v70, v28
	v_dual_add_f32 v127, v33, v30 :: v_dual_sub_f32 v90, v32, v31
	v_dual_mul_f32 v121, 0xbf7e222b, v49 :: v_dual_mul_f32 v130, 0xbf7e222b, v48
	v_dual_add_f32 v94, v68, v58 :: v_dual_add_f32 v105, v71, v27
	v_add_f32_e32 v112, v70, v28
	v_dual_sub_f32 v54, v69, v29 :: v_dual_sub_f32 v89, v63, v62
	v_dual_sub_f32 v55, v65, v59 :: v_dual_sub_f32 v88, v64, v61
	v_dual_sub_f32 v87, v33, v30 :: v_dual_mul_f32 v42, 0xbeedf032, v49
	v_dual_mul_f32 v36, 0xbe750f2a, v90 :: v_dual_mul_f32 v103, 0xbe750f2a, v53
	s_delay_alu instid0(VALU_DEP_2)
	v_dual_mul_f32 v96, 0xbf52af12, v49 :: v_dual_mul_f32 v123, 0xbf52af12, v87
	v_dual_mul_f32 v120, 0xbe750f2a, v51 :: v_dual_mul_f32 v167, 0xbe750f2a, v48
	v_mul_f32_e32 v154, 0x3f7e222b, v50
	v_dual_fmamk_f32 v179, v93, 0x3df6dbef, v121 :: v_dual_add_f32 v132, v63, v62
	v_mul_f32_e32 v45, 0xbeedf032, v48
	v_dual_mul_f32 v40, 0xbf52af12, v51 :: v_dual_mul_f32 v111, 0xbf52af12, v48
	v_dual_mul_f32 v44, 0xbf52af12, v50 :: v_dual_mul_f32 v115, 0xbf52af12, v88
	;; [unrolled: 1-line block ×5, first 2 shown]
	v_dual_mul_f32 v134, 0x3eedf032, v53 :: v_dual_add_f32 v179, v24, v179
	v_fmamk_f32 v100, v93, 0x3f116cb1, v96
	v_dual_fmamk_f32 v171, v112, 0xbf788fa5, v103 :: v_dual_fmamk_f32 v180, v105, 0xbf788fa5, v120
	v_mul_f32_e32 v143, 0xbf6f5d39, v48
	v_fma_f32 v210, 0x3df6dbef, v106, -v154
	v_mul_f32_e32 v155, 0xbf29c268, v48
	v_dual_fmamk_f32 v48, v93, 0x3f62ad3f, v42 :: v_dual_fmamk_f32 v207, v127, 0x3f62ad3f, v145
	v_dual_add_f32 v118, v69, v29 :: v_dual_add_f32 v125, v32, v31
	v_dual_mul_f32 v34, 0xbe750f2a, v89 :: v_dual_mul_f32 v129, 0xbe750f2a, v50
	s_delay_alu instid0(VALU_DEP_3)
	v_dual_mul_f32 v109, 0xbf6f5d39, v50 :: v_dual_add_f32 v48, v24, v48
	v_dual_mul_f32 v47, 0x3f29c268, v55 :: v_dual_add_f32 v100, v24, v100
	v_dual_mul_f32 v107, 0x3f29c268, v54 :: v_dual_mul_f32 v136, 0x3f29c268, v51
	v_dual_mul_f32 v133, 0x3e750f2a, v88 :: v_dual_mul_f32 v140, 0x3e750f2a, v87
	v_fmamk_f32 v183, v127, 0x3f116cb1, v115
	v_dual_fmamk_f32 v195, v112, 0x3f62ad3f, v134 :: v_dual_fmamk_f32 v216, v105, 0x3f62ad3f, v159
	v_fmamk_f32 v168, v105, 0xbeb58ec6, v95
	v_mul_f32_e32 v141, 0x3f29c268, v50
	v_fma_f32 v209, 0xbf3f9e67, v94, -v155
	v_mul_f32_e32 v148, 0x3f7e222b, v51
	v_fma_f32 v51, 0x3f116cb1, v106, -v44
	v_mul_f32_e32 v166, 0x3eedf032, v50
	v_fmamk_f32 v50, v105, 0x3f116cb1, v40
	v_mul_f32_e32 v137, 0xbf6f5d39, v49
	v_fma_f32 v217, 0xbf788fa5, v94, -v167
	v_mul_f32_e32 v146, 0x3e750f2a, v55
	v_fma_f32 v169, 0x3f116cb1, v94, -v111
	v_dual_add_f32 v48, v50, v48 :: v_dual_mul_f32 v149, 0xbf29c268, v49
	s_delay_alu instid0(VALU_DEP_4) | instskip(NEXT) | instid1(VALU_DEP_4)
	v_add_f32_e32 v217, v25, v217
	v_dual_fmamk_f32 v199, v127, 0xbf788fa5, v133 :: v_dual_fmamk_f32 v206, v118, 0xbf788fa5, v146
	v_fmamk_f32 v191, v93, 0xbeb58ec6, v137
	v_mul_f32_e32 v142, 0x3eedf032, v52
	v_dual_fmamk_f32 v173, v118, 0xbf3f9e67, v47 :: v_dual_fmamk_f32 v192, v105, 0xbf3f9e67, v136
	v_fma_f32 v185, 0x3df6dbef, v94, -v130
	s_delay_alu instid0(VALU_DEP_4)
	v_dual_add_f32 v191, v24, v191 :: v_dual_mul_f32 v160, 0xbe750f2a, v49
	v_fma_f32 v49, 0x3f62ad3f, v94, -v45
	v_dual_mul_f32 v38, 0xbf7e222b, v53 :: v_dual_mul_f32 v43, 0xbf7e222b, v52
	v_mul_f32_e32 v110, 0xbe750f2a, v52
	v_dual_mul_f32 v92, 0x3f7e222b, v88 :: v_dual_add_f32 v169, v25, v169
	v_dual_mul_f32 v108, 0x3f7e222b, v87 :: v_dual_add_f32 v185, v25, v185
	v_dual_mul_f32 v117, 0x3f6f5d39, v53 :: v_dual_mul_f32 v126, 0x3f6f5d39, v52
	v_fma_f32 v170, 0xbeb58ec6, v106, -v109
	v_fma_f32 v186, 0xbf788fa5, v106, -v129
	v_dual_add_f32 v49, v25, v49 :: v_dual_add_f32 v50, v168, v100
	v_add_f32_e32 v100, v180, v179
	v_fma_f32 v193, 0xbeb58ec6, v94, -v143
	v_dual_mul_f32 v37, 0xbf6f5d39, v55 :: v_dual_mul_f32 v144, 0xbf6f5d39, v89
	v_dual_mul_f32 v35, 0xbf29c268, v88 :: v_dual_mul_f32 v114, 0xbf29c268, v89
	s_delay_alu instid0(VALU_DEP_3)
	v_dual_mul_f32 v116, 0x3eedf032, v55 :: v_dual_add_f32 v193, v25, v193
	v_dual_mul_f32 v135, 0xbf7e222b, v55 :: v_dual_add_f32 v168, v186, v185
	v_mul_f32_e32 v162, 0x3f7e222b, v90
	v_dual_fmamk_f32 v181, v112, 0xbeb58ec6, v117 :: v_dual_fmamk_f32 v208, v125, 0xbeb58ec6, v144
	v_fma_f32 v194, 0xbf3f9e67, v106, -v141
	v_add_f32_e32 v49, v51, v49
	v_fma_f32 v218, 0x3f62ad3f, v106, -v166
	v_mul_f32_e32 v153, 0xbf52af12, v52
	v_add_f32_e32 v51, v170, v169
	v_add_f32_e32 v169, v192, v191
	v_mul_f32_e32 v163, 0xbf29c268, v52
	v_dual_fmamk_f32 v52, v112, 0x3df6dbef, v38 :: v_dual_fmamk_f32 v197, v118, 0x3df6dbef, v135
	v_dual_add_f32 v119, v65, v59 :: v_dual_add_f32 v128, v64, v61
	v_dual_mul_f32 v41, 0xbf6f5d39, v54 :: v_dual_mul_f32 v158, 0xbf6f5d39, v88
	v_dual_mul_f32 v39, 0xbf29c268, v87 :: v_dual_mul_f32 v122, 0xbf29c268, v90
	;; [unrolled: 1-line block ×3, first 2 shown]
	v_dual_mul_f32 v139, 0xbf7e222b, v54 :: v_dual_add_f32 v170, v194, v193
	v_mul_f32_e32 v161, 0xbf29c268, v53
	v_dual_mul_f32 v157, 0x3f52af12, v55 :: v_dual_mul_f32 v164, 0x3f52af12, v54
	v_fma_f32 v172, 0xbf788fa5, v113, -v110
	v_fmamk_f32 v184, v125, 0xbf3f9e67, v114
	v_fma_f32 v196, 0x3f62ad3f, v113, -v142
	v_mul_f32_e32 v165, 0xbf6f5d39, v87
	v_fmamk_f32 v87, v127, 0xbf3f9e67, v35
	v_fmamk_f32 v215, v93, 0xbf788fa5, v160
	v_mul_f32_e32 v152, 0x3e750f2a, v54
	v_dual_fmamk_f32 v54, v118, 0xbeb58ec6, v37 :: v_dual_fmamk_f32 v223, v127, 0xbeb58ec6, v158
	v_add_f32_e32 v186, v218, v217
	v_add_f32_e32 v48, v52, v48
	;; [unrolled: 1-line block ×4, first 2 shown]
	v_fma_f32 v220, 0xbf3f9e67, v113, -v163
	v_fmamk_f32 v175, v127, 0x3df6dbef, v92
	v_dual_fmamk_f32 v177, v125, 0x3f62ad3f, v46 :: v_dual_add_f32 v48, v54, v48
	v_fma_f32 v222, 0x3f116cb1, v119, -v164
	v_add_f32_e32 v209, v25, v209
	v_dual_fmamk_f32 v204, v105, 0x3df6dbef, v148 :: v_dual_add_f32 v51, v172, v51
	v_dual_add_f32 v172, v220, v186 :: v_dual_fmamk_f32 v203, v93, 0xbf3f9e67, v149
	v_dual_mul_f32 v147, 0xbf52af12, v53 :: v_dual_add_f32 v50, v171, v50
	v_fma_f32 v53, 0x3df6dbef, v113, -v43
	v_fma_f32 v187, 0xbeb58ec6, v113, -v126
	;; [unrolled: 1-line block ×3, first 2 shown]
	v_dual_add_f32 v203, v24, v203 :: v_dual_add_f32 v180, v210, v209
	v_dual_add_f32 v48, v87, v48 :: v_dual_add_f32 v215, v24, v215
	v_dual_mul_f32 v131, 0x3f52af12, v89 :: v_dual_mul_f32 v138, 0x3f52af12, v90
	s_delay_alu instid0(VALU_DEP_3)
	v_dual_mul_f32 v156, 0x3f7e222b, v89 :: v_dual_add_f32 v179, v204, v203
	v_fma_f32 v55, 0xbeb58ec6, v119, -v41
	v_fmamk_f32 v89, v125, 0xbf788fa5, v34
	v_dual_fmamk_f32 v182, v118, 0x3f62ad3f, v116 :: v_dual_add_f32 v49, v53, v49
	v_fma_f32 v198, 0x3df6dbef, v119, -v139
	v_fma_f32 v200, 0xbf788fa5, v128, -v140
	v_fmamk_f32 v205, v112, 0x3f116cb1, v147
	v_fma_f32 v212, 0xbf788fa5, v119, -v152
	v_dual_fmamk_f32 v219, v112, 0xbf3f9e67, v161 :: v_dual_add_f32 v50, v173, v50
	v_add_f32_e32 v185, v216, v215
	v_dual_add_f32 v53, v187, v168 :: v_dual_add_f32 v168, v196, v170
	v_add_f32_e32 v170, v211, v180
	v_fma_f32 v88, 0xbf3f9e67, v128, -v39
	v_fma_f32 v174, 0xbf3f9e67, v119, -v107
	;; [unrolled: 1-line block ×3, first 2 shown]
	v_fmamk_f32 v201, v125, 0x3f116cb1, v131
	v_fma_f32 v213, 0x3f62ad3f, v128, -v151
	v_dual_fmamk_f32 v221, v118, 0x3f116cb1, v157 :: v_dual_add_f32 v54, v197, v100
	v_fma_f32 v224, 0xbeb58ec6, v128, -v165
	v_dual_add_f32 v49, v55, v49 :: v_dual_add_f32 v52, v182, v52
	v_add_f32_e32 v169, v205, v179
	v_dual_add_f32 v55, v198, v168 :: v_dual_add_f32 v168, v212, v170
	v_dual_add_f32 v171, v219, v185 :: v_dual_add_f32 v170, v222, v172
	v_fma_f32 v90, 0xbf788fa5, v132, -v36
	v_fma_f32 v176, 0x3df6dbef, v128, -v108
	s_delay_alu instid0(VALU_DEP_4)
	v_add_f32_e32 v168, v213, v168
	v_fma_f32 v189, 0x3f116cb1, v128, -v123
	v_dual_fmamk_f32 v225, v125, 0x3df6dbef, v156 :: v_dual_add_f32 v50, v175, v50
	v_fma_f32 v226, 0x3df6dbef, v132, -v162
	v_add_f32_e32 v52, v183, v52
	v_add_f32_e32 v100, v206, v169
	;; [unrolled: 1-line block ×8, first 2 shown]
	v_fma_f32 v178, 0x3f62ad3f, v132, -v104
	v_fma_f32 v190, 0xbf3f9e67, v132, -v122
	;; [unrolled: 1-line block ×3, first 2 shown]
	v_add_f32_e32 v88, v90, v49
	v_fma_f32 v214, 0xbeb58ec6, v132, -v150
	v_dual_add_f32 v100, v207, v100 :: v_dual_add_f32 v51, v176, v51
	v_add_f32_e32 v171, v199, v54
	v_dual_add_f32 v169, v223, v169 :: v_dual_add_f32 v54, v177, v50
	v_dual_add_f32 v53, v189, v53 :: v_dual_add_f32 v52, v184, v52
	v_add_f32_e32 v87, v89, v48
	v_add_f32_e32 v55, v178, v51
	;; [unrolled: 1-line block ×3, first 2 shown]
	s_delay_alu instid0(VALU_DEP_4)
	v_dual_add_f32 v53, v190, v53 :: v_dual_add_f32 v48, v208, v100
	v_dual_add_f32 v50, v201, v171 :: v_dual_add_f32 v49, v214, v168
	;; [unrolled: 1-line block ×3, first 2 shown]
	v_lshrrev_b32_e32 v100, 1, v98
	s_and_saveexec_b32 s1, s0
	s_cbranch_execz .LBB0_11
; %bb.10:
	v_dual_mul_f32 v168, 0x3f62ad3f, v93 :: v_dual_mul_f32 v169, 0x3f62ad3f, v94
	v_dual_mul_f32 v170, 0x3f116cb1, v93 :: v_dual_mul_f32 v171, 0x3f116cb1, v94
	;; [unrolled: 1-line block ×12, first 2 shown]
	v_dual_add_f32 v94, v167, v94 :: v_dual_mul_f32 v167, 0xbf788fa5, v125
	v_dual_mul_f32 v188, 0x3df6dbef, v112 :: v_dual_mul_f32 v189, 0x3df6dbef, v113
	v_dual_mul_f32 v190, 0xbf788fa5, v112 :: v_dual_mul_f32 v191, 0xbf788fa5, v113
	;; [unrolled: 1-line block ×6, first 2 shown]
	v_dual_add_f32 v94, v25, v94 :: v_dual_mul_f32 v221, 0xbf3f9e67, v132
	v_dual_add_f32 v106, v166, v106 :: v_dual_sub_f32 v93, v93, v160
	v_dual_mul_f32 v198, 0xbeb58ec6, v118 :: v_dual_mul_f32 v199, 0xbeb58ec6, v119
	v_dual_mul_f32 v200, 0xbf3f9e67, v118 :: v_dual_mul_f32 v201, 0xbf3f9e67, v119
	;; [unrolled: 1-line block ×6, first 2 shown]
	v_dual_mul_f32 v218, 0xbf788fa5, v132 :: v_dual_add_f32 v93, v24, v93
	v_dual_mul_f32 v166, 0xbf3f9e67, v125 :: v_dual_sub_f32 v105, v105, v159
	v_add_f32_e32 v94, v106, v94
	v_add_f32_e32 v106, v163, v113
	v_dual_mul_f32 v208, 0xbf3f9e67, v127 :: v_dual_mul_f32 v209, 0xbf3f9e67, v128
	v_dual_mul_f32 v210, 0x3df6dbef, v127 :: v_dual_mul_f32 v211, 0x3df6dbef, v128
	;; [unrolled: 1-line block ×8, first 2 shown]
	s_delay_alu instid0(VALU_DEP_3) | instskip(SKIP_3) | instid1(VALU_DEP_3)
	v_dual_mul_f32 v160, 0xbeb58ec6, v125 :: v_dual_sub_f32 v127, v127, v158
	v_dual_add_f32 v94, v106, v94 :: v_dual_mul_f32 v125, 0x3df6dbef, v125
	v_dual_add_f32 v106, v164, v119 :: v_dual_add_f32 v93, v105, v93
	v_sub_f32_e32 v105, v112, v161
	v_dual_add_f32 v112, v155, v177 :: v_dual_sub_f32 v125, v125, v156
	s_delay_alu instid0(VALU_DEP_3) | instskip(SKIP_1) | instid1(VALU_DEP_4)
	v_add_f32_e32 v94, v106, v94
	v_add_f32_e32 v106, v165, v128
	v_dual_mul_f32 v128, 0x3df6dbef, v132 :: v_dual_add_f32 v93, v105, v93
	v_sub_f32_e32 v105, v118, v157
	s_delay_alu instid0(VALU_DEP_3) | instskip(NEXT) | instid1(VALU_DEP_3)
	v_dual_mul_f32 v119, 0xbeb58ec6, v132 :: v_dual_add_f32 v94, v106, v94
	v_add_f32_e32 v118, v162, v128
	v_add_f32_e32 v113, v138, v113
	s_delay_alu instid0(VALU_DEP_4) | instskip(SKIP_1) | instid1(VALU_DEP_4)
	v_add_f32_e32 v105, v105, v93
	v_dual_add_f32 v111, v111, v171 :: v_dual_sub_f32 v116, v202, v116
	v_add_f32_e32 v93, v118, v94
	v_dual_add_f32 v110, v110, v191 :: v_dual_add_f32 v107, v107, v201
	s_delay_alu instid0(VALU_DEP_4) | instskip(SKIP_3) | instid1(VALU_DEP_3)
	v_dual_add_f32 v118, v127, v105 :: v_dual_sub_f32 v105, v186, v148
	v_dual_add_f32 v106, v25, v112 :: v_dual_add_f32 v127, v143, v175
	v_sub_f32_e32 v128, v176, v149
	v_dual_add_f32 v112, v154, v187 :: v_dual_sub_f32 v117, v192, v117
	v_dual_sub_f32 v120, v182, v120 :: v_dual_add_f32 v127, v25, v127
	s_delay_alu instid0(VALU_DEP_3) | instskip(NEXT) | instid1(VALU_DEP_3)
	v_add_f32_e32 v94, v24, v128
	v_add_f32_e32 v106, v112, v106
	;; [unrolled: 1-line block ×5, first 2 shown]
	v_dual_add_f32 v94, v105, v94 :: v_dual_sub_f32 v105, v196, v147
	v_dual_add_f32 v109, v109, v181 :: v_dual_sub_f32 v96, v170, v96
	v_dual_add_f32 v104, v104, v220 :: v_dual_add_f32 v45, v45, v169
	s_delay_alu instid0(VALU_DEP_3) | instskip(SKIP_1) | instid1(VALU_DEP_4)
	v_add_f32_e32 v94, v105, v94
	v_sub_f32_e32 v105, v206, v146
	v_dual_add_f32 v106, v112, v106 :: v_dual_add_f32 v109, v109, v111
	v_add_f32_e32 v108, v108, v211
	s_delay_alu instid0(VALU_DEP_3) | instskip(SKIP_4) | instid1(VALU_DEP_4)
	v_dual_sub_f32 v103, v190, v103 :: v_dual_add_f32 v94, v105, v94
	v_dual_sub_f32 v105, v216, v145 :: v_dual_add_f32 v68, v25, v68
	v_sub_f32_e32 v42, v168, v42
	v_add_f32_e32 v44, v44, v179
	v_sub_f32_e32 v40, v178, v40
	v_dual_add_f32 v94, v105, v94 :: v_dual_sub_f32 v105, v160, v144
	v_add_f32_e32 v112, v152, v207
	v_add_f32_e32 v67, v68, v67
	v_sub_f32_e32 v38, v188, v38
	s_delay_alu instid0(VALU_DEP_4) | instskip(NEXT) | instid1(VALU_DEP_4)
	v_add_f32_e32 v105, v105, v94
	v_add_f32_e32 v106, v112, v106
	;; [unrolled: 1-line block ×5, first 2 shown]
	s_delay_alu instid0(VALU_DEP_3) | instskip(SKIP_3) | instid1(VALU_DEP_3)
	v_add_f32_e32 v106, v112, v106
	v_add_f32_e32 v112, v150, v119
	;; [unrolled: 1-line block ×3, first 2 shown]
	v_dual_add_f32 v127, v142, v195 :: v_dual_sub_f32 v128, v184, v136
	v_dual_add_f32 v65, v66, v65 :: v_dual_add_f32 v106, v112, v106
	s_delay_alu instid0(VALU_DEP_2) | instskip(SKIP_1) | instid1(VALU_DEP_1)
	v_add_f32_e32 v119, v127, v119
	v_add_f32_e32 v127, v139, v205
	;; [unrolled: 1-line block ×4, first 2 shown]
	s_delay_alu instid0(VALU_DEP_1) | instskip(SKIP_2) | instid1(VALU_DEP_1)
	v_add_f32_e32 v119, v127, v119
	v_add_f32_e32 v127, v129, v183
	v_dual_sub_f32 v129, v204, v135 :: v_dual_sub_f32 v112, v174, v137
	v_add_f32_e32 v112, v24, v112
	s_delay_alu instid0(VALU_DEP_1) | instskip(SKIP_1) | instid1(VALU_DEP_1)
	v_add_f32_e32 v112, v128, v112
	v_sub_f32_e32 v128, v194, v134
	v_add_f32_e32 v128, v128, v112
	v_dual_add_f32 v112, v113, v119 :: v_dual_sub_f32 v113, v172, v121
	v_add_f32_e32 v119, v126, v193
	s_delay_alu instid0(VALU_DEP_3) | instskip(NEXT) | instid1(VALU_DEP_3)
	v_dual_sub_f32 v126, v214, v133 :: v_dual_add_f32 v121, v129, v128
	v_dual_add_f32 v113, v24, v113 :: v_dual_add_f32 v94, v25, v94
	v_add_f32_e32 v25, v25, v45
	s_delay_alu instid0(VALU_DEP_3) | instskip(NEXT) | instid1(VALU_DEP_3)
	v_add_f32_e32 v121, v126, v121
	v_dual_add_f32 v113, v120, v113 :: v_dual_add_f32 v94, v127, v94
	s_delay_alu instid0(VALU_DEP_1) | instskip(SKIP_2) | instid1(VALU_DEP_3)
	v_dual_add_f32 v113, v117, v113 :: v_dual_add_f32 v94, v119, v94
	v_sub_f32_e32 v117, v222, v131
	v_add_f32_e32 v119, v124, v203
	v_add_f32_e32 v111, v116, v113
	v_sub_f32_e32 v113, v212, v115
	s_delay_alu instid0(VALU_DEP_3) | instskip(SKIP_1) | instid1(VALU_DEP_3)
	v_dual_add_f32 v109, v110, v109 :: v_dual_add_f32 v94, v119, v94
	v_add_f32_e32 v119, v123, v213
	v_dual_add_f32 v115, v122, v221 :: v_dual_add_f32 v110, v113, v111
	v_sub_f32_e32 v113, v180, v95
	v_dual_sub_f32 v111, v166, v114 :: v_dual_add_f32 v96, v24, v96
	s_delay_alu instid0(VALU_DEP_4) | instskip(NEXT) | instid1(VALU_DEP_2)
	v_add_f32_e32 v94, v119, v94
	v_dual_add_f32 v107, v107, v109 :: v_dual_add_f32 v96, v113, v96
	s_delay_alu instid0(VALU_DEP_2) | instskip(NEXT) | instid1(VALU_DEP_2)
	v_add_f32_e32 v95, v115, v94
	v_dual_add_f32 v94, v111, v110 :: v_dual_add_f32 v107, v108, v107
	s_delay_alu instid0(VALU_DEP_3) | instskip(SKIP_2) | instid1(VALU_DEP_3)
	v_dual_add_f32 v91, v24, v91 :: v_dual_add_f32 v96, v103, v96
	v_sub_f32_e32 v103, v200, v47
	v_dual_add_f32 v24, v24, v42 :: v_dual_add_f32 v43, v43, v189
	v_dual_add_f32 v68, v91, v71 :: v_dual_sub_f32 v91, v210, v92
	s_delay_alu instid0(VALU_DEP_3) | instskip(NEXT) | instid1(VALU_DEP_3)
	v_add_f32_e32 v71, v103, v96
	v_dual_add_f32 v24, v40, v24 :: v_dual_add_f32 v111, v117, v121
	s_delay_alu instid0(VALU_DEP_3) | instskip(SKIP_1) | instid1(VALU_DEP_3)
	v_add_f32_e32 v67, v68, v70
	v_add_f32_e32 v47, v104, v107
	v_dual_add_f32 v45, v91, v71 :: v_dual_add_f32 v24, v38, v24
	v_add_f32_e32 v92, v125, v118
	s_delay_alu instid0(VALU_DEP_4) | instskip(NEXT) | instid1(VALU_DEP_1)
	v_add_f32_e32 v66, v67, v69
	v_add_f32_e32 v33, v66, v33
	v_dual_add_f32 v25, v44, v25 :: v_dual_add_f32 v44, v65, v64
	s_delay_alu instid0(VALU_DEP_2) | instskip(SKIP_1) | instid1(VALU_DEP_3)
	v_add_f32_e32 v32, v33, v32
	v_add_f32_e32 v33, v41, v199
	v_dual_add_f32 v42, v44, v63 :: v_dual_add_f32 v25, v43, v25
	s_delay_alu instid0(VALU_DEP_3) | instskip(NEXT) | instid1(VALU_DEP_2)
	v_dual_add_f32 v31, v32, v31 :: v_dual_add_f32 v32, v39, v209
	v_dual_add_f32 v40, v42, v62 :: v_dual_add_f32 v25, v33, v25
	s_delay_alu instid0(VALU_DEP_2) | instskip(NEXT) | instid1(VALU_DEP_2)
	v_dual_add_f32 v30, v31, v30 :: v_dual_sub_f32 v31, v198, v37
	v_add_f32_e32 v33, v40, v61
	v_sub_f32_e32 v37, v219, v46
	s_delay_alu instid0(VALU_DEP_3) | instskip(NEXT) | instid1(VALU_DEP_4)
	v_add_f32_e32 v29, v30, v29
	v_dual_add_f32 v25, v32, v25 :: v_dual_add_f32 v24, v31, v24
	s_delay_alu instid0(VALU_DEP_4) | instskip(SKIP_2) | instid1(VALU_DEP_3)
	v_add_f32_e32 v32, v33, v59
	v_sub_f32_e32 v30, v208, v35
	v_dual_add_f32 v31, v36, v218 :: v_dual_add_f32 v46, v37, v45
	v_add_f32_e32 v32, v32, v60
	s_delay_alu instid0(VALU_DEP_3) | instskip(SKIP_4) | instid1(VALU_DEP_4)
	v_add_f32_e32 v24, v30, v24
	v_add_f32_e32 v28, v29, v28
	v_mul_u32_u24_e32 v29, 26, v100
	v_sub_f32_e32 v30, v167, v34
	v_add_f32_e32 v32, v32, v57
	v_dual_add_f32 v25, v31, v25 :: v_dual_add_f32 v28, v28, v27
	s_delay_alu instid0(VALU_DEP_4) | instskip(NEXT) | instid1(VALU_DEP_3)
	v_or_b32_e32 v29, v29, v99
	v_dual_add_f32 v24, v30, v24 :: v_dual_add_f32 v27, v32, v58
	s_delay_alu instid0(VALU_DEP_3) | instskip(NEXT) | instid1(VALU_DEP_3)
	v_add_f32_e32 v26, v28, v26
	v_lshlrev_b32_e32 v28, 3, v29
	ds_store_2addr_b64 v28, v[26:27], v[24:25] offset1:2
	ds_store_2addr_b64 v28, v[46:47], v[94:95] offset0:4 offset1:6
	ds_store_2addr_b64 v28, v[111:112], v[105:106] offset0:8 offset1:10
	;; [unrolled: 1-line block ×5, first 2 shown]
	ds_store_b64 v28, v[87:88] offset:192
.LBB0_11:
	s_wait_alu 0xfffe
	s_or_b32 exec_lo, exec_lo, s1
	v_and_b32_e32 v24, 0xff, v98
	global_wb scope:SCOPE_SE
	s_wait_dscnt 0x0
	s_barrier_signal -1
	s_barrier_wait -1
	global_inv scope:SCOPE_SE
	v_mul_lo_u16 v24, 0x4f, v24
	s_delay_alu instid0(VALU_DEP_1) | instskip(NEXT) | instid1(VALU_DEP_1)
	v_lshrrev_b16 v57, 11, v24
	v_mul_lo_u16 v24, v57, 26
	s_delay_alu instid0(VALU_DEP_1) | instskip(NEXT) | instid1(VALU_DEP_1)
	v_sub_nc_u16 v24, v98, v24
	v_and_b32_e32 v61, 0xff, v24
	s_delay_alu instid0(VALU_DEP_1)
	v_mad_co_u64_u32 v[24:25], null, v61, 48, s[2:3]
	s_clause 0x2
	global_load_b128 v[32:35], v[24:25], off offset:192
	global_load_b128 v[28:31], v[24:25], off offset:208
	;; [unrolled: 1-line block ×3, first 2 shown]
	v_add_nc_u32_e32 v71, 0xa00, v97
	v_add_nc_u32_e32 v93, 0x1600, v97
	ds_load_2addr_b64 v[36:39], v97 offset1:182
	v_and_b32_e32 v59, 0xffff, v57
	ds_load_2addr_b64 v[40:43], v71 offset0:44 offset1:226
	ds_load_2addr_b64 v[44:47], v93 offset0:24 offset1:206
	ds_load_b64 v[57:58], v97 offset:8736
	global_wb scope:SCOPE_SE
	s_wait_loadcnt_dscnt 0x0
	s_barrier_signal -1
	s_barrier_wait -1
	global_inv scope:SCOPE_SE
	v_dual_mul_f32 v63, v41, v35 :: v_dual_mul_f32 v66, v42, v29
	v_mul_f32_e32 v92, v57, v27
	v_mul_u32_u24_e32 v62, 0xb6, v59
	v_dual_mul_f32 v64, v40, v35 :: v_dual_mul_f32 v65, v43, v29
	v_dual_mul_f32 v67, v45, v31 :: v_dual_mul_f32 v70, v46, v25
	s_delay_alu instid0(VALU_DEP_3) | instskip(SKIP_3) | instid1(VALU_DEP_3)
	v_add_lshl_u32 v103, v62, v61, 3
	v_mul_f32_e32 v62, v38, v33
	v_mul_f32_e32 v61, v39, v33
	v_dual_mul_f32 v69, v47, v25 :: v_dual_fmac_f32 v92, v58, v26
	v_dual_mul_f32 v91, v58, v27 :: v_dual_fmac_f32 v62, v39, v32
	v_fma_f32 v39, v40, v34, -v63
	v_fmac_f32_e32 v64, v41, v34
	v_fma_f32 v40, v42, v28, -v65
	v_fma_f32 v41, v44, v30, -v67
	v_mul_f32_e32 v68, v44, v31
	v_fma_f32 v38, v38, v32, -v61
	v_fma_f32 v42, v57, v26, -v91
	s_delay_alu instid0(VALU_DEP_4) | instskip(SKIP_4) | instid1(VALU_DEP_3)
	v_dual_fmac_f32 v70, v47, v24 :: v_dual_add_f32 v57, v40, v41
	v_fmac_f32_e32 v66, v43, v28
	v_fma_f32 v43, v46, v24, -v69
	v_dual_fmac_f32 v68, v45, v30 :: v_dual_add_f32 v45, v62, v92
	v_add_f32_e32 v44, v38, v42
	v_dual_add_f32 v47, v64, v70 :: v_dual_add_f32 v46, v39, v43
	v_sub_f32_e32 v39, v39, v43
	v_dual_sub_f32 v43, v64, v70 :: v_dual_sub_f32 v40, v41, v40
	v_sub_f32_e32 v38, v38, v42
	v_sub_f32_e32 v42, v62, v92
	v_dual_add_f32 v58, v66, v68 :: v_dual_sub_f32 v41, v68, v66
	s_delay_alu instid0(VALU_DEP_4) | instskip(SKIP_2) | instid1(VALU_DEP_4)
	v_sub_f32_e32 v67, v40, v39
	v_dual_add_f32 v61, v46, v44 :: v_dual_add_f32 v62, v47, v45
	v_dual_sub_f32 v63, v46, v44 :: v_dual_sub_f32 v64, v47, v45
	v_dual_sub_f32 v44, v44, v57 :: v_dual_sub_f32 v45, v45, v58
	;; [unrolled: 1-line block ×3, first 2 shown]
	v_add_f32_e32 v65, v40, v39
	v_dual_add_f32 v66, v41, v43 :: v_dual_sub_f32 v39, v39, v38
	v_dual_sub_f32 v40, v38, v40 :: v_dual_add_f32 v57, v57, v61
	v_dual_add_f32 v58, v58, v62 :: v_dual_mul_f32 v45, 0x3f4a47b2, v45
	v_dual_sub_f32 v68, v41, v43 :: v_dual_sub_f32 v43, v43, v42
	v_dual_sub_f32 v41, v42, v41 :: v_dual_add_f32 v38, v65, v38
	v_dual_mul_f32 v65, 0xbf08b237, v67 :: v_dual_add_f32 v42, v66, v42
	v_mul_f32_e32 v67, 0x3f5ff5aa, v39
	v_dual_mul_f32 v44, 0x3f4a47b2, v44 :: v_dual_add_f32 v37, v37, v58
	v_dual_mul_f32 v61, 0x3d64c772, v46 :: v_dual_mul_f32 v62, 0x3d64c772, v47
	v_dual_add_f32 v36, v36, v57 :: v_dual_fmamk_f32 v47, v47, 0x3d64c772, v45
	s_delay_alu instid0(VALU_DEP_3) | instskip(NEXT) | instid1(VALU_DEP_3)
	v_fmamk_f32 v46, v46, 0x3d64c772, v44
	v_fma_f32 v61, 0x3f3bfb3b, v63, -v61
	v_fma_f32 v44, 0xbf3bfb3b, v63, -v44
	v_fmamk_f32 v63, v40, 0x3eae86e6, v65
	v_fma_f32 v65, 0x3f5ff5aa, v39, -v65
	v_fma_f32 v67, 0xbeae86e6, v40, -v67
	v_dual_fmamk_f32 v39, v57, 0xbf955555, v36 :: v_dual_fmamk_f32 v40, v58, 0xbf955555, v37
	v_fma_f32 v62, 0x3f3bfb3b, v64, -v62
	s_delay_alu instid0(VALU_DEP_4)
	v_fmac_f32_e32 v65, 0x3ee1c552, v38
	v_fma_f32 v45, 0xbf3bfb3b, v64, -v45
	v_mad_co_u64_u32 v[59:60], null, v98, 48, s[2:3]
	v_dual_add_f32 v58, v47, v40 :: v_dual_add_f32 v47, v44, v39
	v_dual_mul_f32 v66, 0xbf08b237, v68 :: v_dual_add_f32 v57, v46, v39
	v_mul_f32_e32 v68, 0x3f5ff5aa, v43
	v_add_f32_e32 v46, v61, v39
	v_add_f32_e32 v61, v45, v40
	s_delay_alu instid0(VALU_DEP_4) | instskip(SKIP_3) | instid1(VALU_DEP_4)
	v_fmamk_f32 v64, v41, 0x3eae86e6, v66
	v_fma_f32 v66, 0x3f5ff5aa, v43, -v66
	v_fma_f32 v68, 0xbeae86e6, v41, -v68
	v_fmac_f32_e32 v63, 0x3ee1c552, v38
	v_dual_add_f32 v45, v62, v40 :: v_dual_fmac_f32 v64, 0x3ee1c552, v42
	s_delay_alu instid0(VALU_DEP_4) | instskip(SKIP_1) | instid1(VALU_DEP_4)
	v_fmac_f32_e32 v66, 0x3ee1c552, v42
	v_fmac_f32_e32 v67, 0x3ee1c552, v38
	v_sub_f32_e32 v39, v58, v63
	s_delay_alu instid0(VALU_DEP_4) | instskip(SKIP_1) | instid1(VALU_DEP_4)
	v_add_f32_e32 v43, v65, v45
	v_add_f32_e32 v38, v64, v57
	v_dual_fmac_f32 v68, 0x3ee1c552, v42 :: v_dual_sub_f32 v41, v61, v67
	v_dual_sub_f32 v42, v46, v66 :: v_dual_sub_f32 v45, v45, v65
	v_add_f32_e32 v44, v66, v46
	s_delay_alu instid0(VALU_DEP_3)
	v_add_f32_e32 v40, v68, v47
	v_sub_f32_e32 v46, v47, v68
	v_add_f32_e32 v47, v67, v61
	v_dual_sub_f32 v57, v57, v64 :: v_dual_add_f32 v58, v63, v58
	ds_store_2addr_b64 v103, v[36:37], v[38:39] offset1:26
	ds_store_2addr_b64 v103, v[40:41], v[42:43] offset0:52 offset1:78
	ds_store_2addr_b64 v103, v[44:45], v[46:47] offset0:104 offset1:130
	ds_store_b64 v103, v[57:58] offset:1248
	global_wb scope:SCOPE_SE
	s_wait_dscnt 0x0
	s_barrier_signal -1
	s_barrier_wait -1
	global_inv scope:SCOPE_SE
	s_clause 0x2
	global_load_b128 v[44:47], v[59:60], off offset:1440
	global_load_b128 v[40:43], v[59:60], off offset:1456
	;; [unrolled: 1-line block ×3, first 2 shown]
	ds_load_2addr_b64 v[57:60], v97 offset1:182
	ds_load_2addr_b64 v[61:64], v71 offset0:44 offset1:226
	ds_load_2addr_b64 v[65:68], v93 offset0:24 offset1:206
	ds_load_b64 v[69:70], v97 offset:8736
	s_add_nc_u64 s[2:3], s[16:17], 0x27d0
	s_wait_loadcnt_dscnt 0x203
	v_mul_f32_e32 v91, v60, v45
	s_wait_dscnt 0x2
	v_dual_mul_f32 v92, v59, v45 :: v_dual_mul_f32 v95, v61, v47
	s_wait_loadcnt_dscnt 0x1
	v_dual_mul_f32 v94, v62, v47 :: v_dual_mul_f32 v107, v68, v37
	v_dual_mul_f32 v96, v64, v41 :: v_dual_mul_f32 v105, v66, v43
	s_wait_dscnt 0x0
	v_dual_mul_f32 v104, v63, v41 :: v_dual_mul_f32 v109, v70, v39
	v_fma_f32 v59, v59, v44, -v91
	v_fmac_f32_e32 v92, v60, v44
	v_fma_f32 v60, v61, v46, -v94
	v_fma_f32 v61, v63, v40, -v96
	v_fma_f32 v63, v69, v38, -v109
	v_fmac_f32_e32 v104, v64, v40
	v_fma_f32 v64, v67, v36, -v107
	v_mul_f32_e32 v110, v69, v39
	v_dual_mul_f32 v106, v65, v43 :: v_dual_fmac_f32 v95, v62, v46
	v_fma_f32 v62, v65, v42, -v105
	s_delay_alu instid0(VALU_DEP_3) | instskip(SKIP_2) | instid1(VALU_DEP_4)
	v_dual_add_f32 v65, v59, v63 :: v_dual_fmac_f32 v110, v70, v38
	v_dual_mul_f32 v108, v67, v37 :: v_dual_add_f32 v67, v60, v64
	v_sub_f32_e32 v59, v59, v63
	v_add_f32_e32 v69, v61, v62
	v_fmac_f32_e32 v106, v66, v42
	v_dual_sub_f32 v61, v62, v61 :: v_dual_sub_f32 v60, v60, v64
	v_dual_add_f32 v91, v67, v65 :: v_dual_add_f32 v66, v92, v110
	v_sub_f32_e32 v63, v92, v110
	v_fmac_f32_e32 v108, v68, v36
	s_delay_alu instid0(VALU_DEP_4)
	v_add_f32_e32 v96, v61, v60
	v_sub_f32_e32 v94, v67, v65
	v_dual_sub_f32 v65, v65, v69 :: v_dual_add_f32 v70, v104, v106
	v_sub_f32_e32 v105, v61, v60
	v_dual_add_f32 v68, v95, v108 :: v_dual_sub_f32 v67, v69, v67
	v_sub_f32_e32 v64, v95, v108
	v_dual_sub_f32 v62, v106, v104 :: v_dual_add_f32 v69, v69, v91
	s_delay_alu instid0(VALU_DEP_3)
	v_dual_add_f32 v92, v68, v66 :: v_dual_mul_f32 v65, 0x3f4a47b2, v65
	v_dual_sub_f32 v95, v68, v66 :: v_dual_sub_f32 v68, v70, v68
	v_mul_f32_e32 v91, 0x3d64c772, v67
	v_dual_sub_f32 v61, v59, v61 :: v_dual_sub_f32 v60, v60, v59
	v_dual_add_f32 v104, v62, v64 :: v_dual_add_f32 v57, v57, v69
	v_sub_f32_e32 v106, v62, v64
	v_sub_f32_e32 v62, v63, v62
	v_fmamk_f32 v67, v67, 0x3d64c772, v65
	v_add_f32_e32 v59, v96, v59
	v_fma_f32 v91, 0x3f3bfb3b, v94, -v91
	v_mul_f32_e32 v96, 0xbf08b237, v105
	v_dual_mul_f32 v105, 0x3f5ff5aa, v60 :: v_dual_sub_f32 v66, v66, v70
	v_fma_f32 v65, 0xbf3bfb3b, v94, -v65
	s_delay_alu instid0(VALU_DEP_3) | instskip(NEXT) | instid1(VALU_DEP_3)
	v_fmamk_f32 v94, v61, 0x3eae86e6, v96
	v_fma_f32 v105, 0xbeae86e6, v61, -v105
	v_add_f32_e32 v70, v70, v92
	s_delay_alu instid0(VALU_DEP_3) | instskip(NEXT) | instid1(VALU_DEP_2)
	v_fmac_f32_e32 v94, 0x3ee1c552, v59
	v_dual_fmac_f32 v105, 0x3ee1c552, v59 :: v_dual_add_f32 v58, v58, v70
	v_sub_f32_e32 v64, v64, v63
	v_dual_add_f32 v63, v104, v63 :: v_dual_mul_f32 v66, 0x3f4a47b2, v66
	v_mul_f32_e32 v104, 0xbf08b237, v106
	s_delay_alu instid0(VALU_DEP_4) | instskip(SKIP_1) | instid1(VALU_DEP_4)
	v_fmamk_f32 v61, v70, 0xbf955555, v58
	v_mul_f32_e32 v92, 0x3d64c772, v68
	v_fmamk_f32 v68, v68, 0x3d64c772, v66
	v_fma_f32 v66, 0xbf3bfb3b, v95, -v66
	s_delay_alu instid0(VALU_DEP_3) | instskip(SKIP_3) | instid1(VALU_DEP_3)
	v_fma_f32 v92, 0x3f3bfb3b, v95, -v92
	v_fmamk_f32 v95, v62, 0x3eae86e6, v104
	v_fma_f32 v96, 0x3f5ff5aa, v60, -v96
	v_fmamk_f32 v60, v69, 0xbf955555, v57
	v_dual_add_f32 v70, v68, v61 :: v_dual_fmac_f32 v95, 0x3ee1c552, v63
	s_delay_alu instid0(VALU_DEP_2) | instskip(SKIP_3) | instid1(VALU_DEP_4)
	v_dual_fmac_f32 v96, 0x3ee1c552, v59 :: v_dual_add_f32 v69, v67, v60
	v_add_f32_e32 v67, v91, v60
	v_dual_add_f32 v68, v65, v60 :: v_dual_add_f32 v91, v66, v61
	v_add_f32_e32 v66, v92, v61
	v_add_f32_e32 v59, v95, v69
	v_fma_f32 v104, 0x3f5ff5aa, v64, -v104
	v_sub_f32_e32 v60, v70, v94
	v_add_f32_e32 v92, v94, v70
	s_delay_alu instid0(VALU_DEP_3) | instskip(SKIP_2) | instid1(VALU_DEP_3)
	v_fmac_f32_e32 v104, 0x3ee1c552, v63
	v_mul_f32_e32 v106, 0x3f5ff5aa, v64
	v_add_f32_e32 v64, v96, v66
	v_dual_sub_f32 v66, v66, v96 :: v_dual_add_f32 v65, v104, v67
	s_delay_alu instid0(VALU_DEP_3) | instskip(SKIP_1) | instid1(VALU_DEP_2)
	v_fma_f32 v106, 0xbeae86e6, v62, -v106
	v_sub_f32_e32 v62, v91, v105
	v_dual_fmac_f32 v106, 0x3ee1c552, v63 :: v_dual_sub_f32 v63, v67, v104
	s_delay_alu instid0(VALU_DEP_1)
	v_add_f32_e32 v61, v106, v68
	v_dual_sub_f32 v67, v68, v106 :: v_dual_add_f32 v68, v105, v91
	v_sub_f32_e32 v91, v69, v95
	ds_store_2addr_b64 v97, v[57:58], v[59:60] offset1:182
	ds_store_2addr_b64 v71, v[61:62], v[63:64] offset0:44 offset1:226
	ds_store_2addr_b64 v93, v[65:66], v[67:68] offset0:24 offset1:206
	ds_store_b64 v97, v[91:92] offset:8736
	global_wb scope:SCOPE_SE
	s_wait_dscnt 0x0
	s_barrier_signal -1
	s_barrier_wait -1
	global_inv scope:SCOPE_SE
	s_clause 0x5
	global_load_b64 v[61:62], v[73:74], off offset:10192
	global_load_b64 v[63:64], v97, s[2:3] offset:8008
	global_load_b64 v[65:66], v97, s[2:3] offset:1456
	;; [unrolled: 1-line block ×5, first 2 shown]
	ds_load_2addr_b64 v[57:60], v97 offset1:182
	ds_load_b64 v[95:96], v97 offset:8008
	ds_load_b64 v[106:107], v97 offset:2912
	s_wait_loadcnt_dscnt 0x401
	v_mul_f32_e32 v109, v95, v64
	v_mul_f32_e32 v71, v58, v62
	v_dual_mul_f32 v105, v57, v62 :: v_dual_mul_f32 v62, v96, v64
	s_wait_loadcnt 0x3
	s_delay_alu instid0(VALU_DEP_3) | instskip(NEXT) | instid1(VALU_DEP_3)
	v_dual_fmac_f32 v109, v96, v63 :: v_dual_mul_f32 v96, v59, v66
	v_fma_f32 v104, v57, v61, -v71
	s_delay_alu instid0(VALU_DEP_3)
	v_fmac_f32_e32 v105, v58, v61
	v_add_nc_u32_e32 v57, 0x1200, v97
	v_fma_f32 v108, v95, v63, -v62
	s_wait_loadcnt_dscnt 0x200
	v_dual_mul_f32 v58, v60, v66 :: v_dual_mul_f32 v71, v107, v68
	ds_store_b64 v97, v[104:105]
	ds_load_2addr_b64 v[61:64], v57 offset0:61 offset1:243
	v_mul_f32_e32 v66, v106, v68
	v_fma_f32 v95, v59, v65, -v58
	v_fmac_f32_e32 v96, v60, v65
	v_add_nc_u32_e32 v104, 0x400, v97
	v_fma_f32 v65, v106, v67, -v71
	v_fmac_f32_e32 v66, v107, v67
	s_wait_loadcnt_dscnt 0x100
	v_mul_f32_e32 v58, v62, v70
	v_mul_f32_e32 v59, v61, v70
	s_wait_loadcnt 0x0
	v_mul_f32_e32 v60, v64, v94
	v_mul_f32_e32 v68, v63, v94
	v_fma_f32 v58, v61, v69, -v58
	v_fmac_f32_e32 v59, v62, v69
	s_delay_alu instid0(VALU_DEP_4) | instskip(NEXT) | instid1(VALU_DEP_4)
	v_fma_f32 v67, v63, v93, -v60
	v_fmac_f32_e32 v68, v64, v93
	ds_store_2addr_b64 v104, v[95:96], v[65:66] offset0:54 offset1:236
	ds_store_2addr_b64 v57, v[58:59], v[67:68] offset0:61 offset1:243
	ds_store_b64 v97, v[108:109] offset:8008
	s_and_saveexec_b32 s1, vcc_lo
	s_cbranch_execz .LBB0_13
; %bb.12:
	s_wait_alu 0xfffe
	v_add_co_u32 v58, s2, s2, v97
	s_wait_alu 0xf1ff
	v_add_co_ci_u32_e64 v59, null, s3, 0, s2
	s_clause 0x1
	global_load_b64 v[60:61], v[58:59], off offset:4368
	global_load_b64 v[58:59], v[58:59], off offset:9464
	ds_load_b64 v[62:63], v97 offset:4368
	ds_load_b64 v[64:65], v97 offset:9464
	s_wait_loadcnt_dscnt 0x101
	v_mul_f32_e32 v66, v63, v61
	s_wait_loadcnt_dscnt 0x0
	v_dual_mul_f32 v67, v62, v61 :: v_dual_mul_f32 v68, v65, v59
	v_mul_f32_e32 v61, v64, v59
	s_delay_alu instid0(VALU_DEP_3) | instskip(NEXT) | instid1(VALU_DEP_3)
	v_fma_f32 v66, v62, v60, -v66
	v_fmac_f32_e32 v67, v63, v60
	s_delay_alu instid0(VALU_DEP_4) | instskip(NEXT) | instid1(VALU_DEP_4)
	v_fma_f32 v60, v64, v58, -v68
	v_fmac_f32_e32 v61, v65, v58
	ds_store_b64 v97, v[66:67] offset:4368
	ds_store_b64 v97, v[60:61] offset:9464
.LBB0_13:
	s_wait_alu 0xfffe
	s_or_b32 exec_lo, exec_lo, s1
	global_wb scope:SCOPE_SE
	s_wait_dscnt 0x0
	s_barrier_signal -1
	s_barrier_wait -1
	global_inv scope:SCOPE_SE
	ds_load_2addr_b64 v[61:64], v97 offset1:182
	ds_load_2addr_b64 v[65:68], v57 offset0:61 offset1:243
	ds_load_b64 v[93:94], v97 offset:2912
	ds_load_b64 v[95:96], v97 offset:8008
	v_add_nc_u32_e32 v105, 0xb60, v56
	v_add_nc_u32_e32 v104, 0x16c0, v56
	s_and_saveexec_b32 s1, vcc_lo
	s_cbranch_execz .LBB0_15
; %bb.14:
	ds_load_b64 v[91:92], v97 offset:4368
	ds_load_b64 v[89:90], v97 offset:9464
.LBB0_15:
	s_wait_alu 0xfffe
	s_or_b32 exec_lo, exec_lo, s1
	s_wait_dscnt 0x2
	v_dual_sub_f32 v58, v61, v65 :: v_dual_sub_f32 v59, v62, v66
	v_dual_sub_f32 v70, v63, v67 :: v_dual_sub_f32 v71, v64, v68
	s_wait_dscnt 0x0
	v_dual_sub_f32 v66, v93, v95 :: v_dual_sub_f32 v67, v94, v96
	s_delay_alu instid0(VALU_DEP_3) | instskip(NEXT) | instid1(VALU_DEP_3)
	v_fma_f32 v57, v62, 2.0, -v59
	v_fma_f32 v68, v63, 2.0, -v70
	v_dual_sub_f32 v62, v91, v89 :: v_dual_sub_f32 v63, v92, v90
	v_fma_f32 v56, v61, 2.0, -v58
	v_fma_f32 v69, v64, 2.0, -v71
	;; [unrolled: 1-line block ×6, first 2 shown]
	global_wb scope:SCOPE_SE
	s_barrier_signal -1
	s_barrier_wait -1
	global_inv scope:SCOPE_SE
	ds_store_b128 v102, v[56:59]
	ds_store_b128 v105, v[68:71]
	;; [unrolled: 1-line block ×3, first 2 shown]
	s_and_saveexec_b32 s1, vcc_lo
	s_cbranch_execz .LBB0_17
; %bb.16:
	ds_store_b128 v101, v[60:63]
.LBB0_17:
	s_wait_alu 0xfffe
	s_or_b32 exec_lo, exec_lo, s1
	global_wb scope:SCOPE_SE
	s_wait_dscnt 0x0
	s_barrier_signal -1
	s_barrier_wait -1
	global_inv scope:SCOPE_SE
	s_and_saveexec_b32 s1, s0
	s_cbranch_execz .LBB0_19
; %bb.18:
	v_add_nc_u32_e32 v48, 0x400, v97
	v_add_nc_u32_e32 v49, 0x800, v97
	;; [unrolled: 1-line block ×5, first 2 shown]
	ds_load_2addr_b64 v[56:59], v97 offset1:98
	ds_load_2addr_b64 v[68:71], v48 offset0:68 offset1:166
	ds_load_2addr_b64 v[64:67], v49 offset0:136 offset1:234
	;; [unrolled: 1-line block ×5, first 2 shown]
	ds_load_b64 v[87:88], v97 offset:9408
.LBB0_19:
	s_wait_alu 0xfffe
	s_or_b32 exec_lo, exec_lo, s1
	global_wb scope:SCOPE_SE
	s_wait_dscnt 0x0
	s_barrier_signal -1
	s_barrier_wait -1
	global_inv scope:SCOPE_SE
	s_and_saveexec_b32 s1, s0
	s_cbranch_execz .LBB0_21
; %bb.20:
	v_dual_mul_f32 v89, v23, v87 :: v_dual_mul_f32 v90, v13, v58
	v_mul_f32_e32 v91, v13, v59
	v_mul_f32_e32 v23, v23, v88
	;; [unrolled: 1-line block ×3, first 2 shown]
	s_delay_alu instid0(VALU_DEP_4)
	v_fma_f32 v88, v22, v88, -v89
	v_fma_f32 v59, v12, v59, -v90
	v_mul_f32_e32 v90, v15, v69
	v_mul_f32_e32 v89, v15, v68
	v_fmac_f32_e32 v91, v12, v58
	v_fmac_f32_e32 v23, v22, v87
	s_delay_alu instid0(VALU_DEP_4) | instskip(SKIP_2) | instid1(VALU_DEP_4)
	v_dual_mul_f32 v15, v9, v70 :: v_dual_fmac_f32 v90, v14, v68
	v_mul_f32_e32 v13, v21, v54
	v_mul_f32_e32 v68, v9, v71
	v_sub_f32_e32 v12, v91, v23
	v_dual_mul_f32 v21, v21, v55 :: v_dual_mul_f32 v94, v3, v49
	s_delay_alu instid0(VALU_DEP_4) | instskip(NEXT) | instid1(VALU_DEP_4)
	v_fma_f32 v22, v20, v55, -v13
	v_dual_fmac_f32 v68, v8, v70 :: v_dual_mul_f32 v13, v19, v52
	s_delay_alu instid0(VALU_DEP_3)
	v_fmac_f32_e32 v21, v20, v54
	v_fma_f32 v54, v8, v71, -v15
	v_fma_f32 v69, v14, v69, -v89
	v_dual_mul_f32 v15, v17, v50 :: v_dual_fmac_f32 v94, v2, v48
	v_fma_f32 v20, v18, v53, -v13
	v_mul_f32_e32 v53, v19, v53
	v_sub_f32_e32 v9, v90, v21
	s_delay_alu instid0(VALU_DEP_4) | instskip(SKIP_1) | instid1(VALU_DEP_4)
	v_fma_f32 v70, v16, v51, -v15
	v_sub_f32_e32 v106, v69, v22
	v_dual_add_f32 v92, v20, v54 :: v_dual_fmac_f32 v53, v18, v52
	v_mul_f32_e32 v18, v11, v64
	v_sub_f32_e32 v109, v54, v20
	s_delay_alu instid0(VALU_DEP_3) | instskip(NEXT) | instid1(VALU_DEP_4)
	v_dual_fmac_f32 v93, v16, v50 :: v_dual_mul_f32 v52, 0xbf3f9e67, v92
	v_sub_f32_e32 v8, v68, v53
	v_add_f32_e32 v55, v22, v69
	s_delay_alu instid0(VALU_DEP_4)
	v_mul_f32_e32 v110, 0xbf29c268, v109
	v_mul_f32_e32 v115, 0x3f116cb1, v92
	;; [unrolled: 1-line block ×5, first 2 shown]
	v_dual_add_f32 v87, v88, v59 :: v_dual_mul_f32 v128, 0x3f62ad3f, v92
	v_mul_f32_e32 v146, 0xbe750f2a, v106
	s_delay_alu instid0(VALU_DEP_3) | instskip(NEXT) | instid1(VALU_DEP_3)
	v_fmamk_f32 v14, v9, 0xbeedf032, v71
	v_mul_f32_e32 v58, 0xbf788fa5, v87
	v_mul_f32_e32 v112, 0xbf3f9e67, v87
	v_mul_f32_e32 v124, 0xbeb58ec6, v87
	v_mul_f32_e32 v136, 0x3df6dbef, v87
	s_delay_alu instid0(VALU_DEP_4) | instskip(NEXT) | instid1(VALU_DEP_1)
	v_fmamk_f32 v89, v12, 0x3e750f2a, v58
	v_dual_fmac_f32 v58, 0xbe750f2a, v12 :: v_dual_add_f32 v13, v57, v89
	v_fma_f32 v89, v10, v65, -v18
	v_mul_f32_e32 v65, v11, v65
	v_mul_f32_e32 v11, v3, v48
	v_sub_f32_e32 v48, v59, v88
	s_delay_alu instid0(VALU_DEP_4) | instskip(SKIP_1) | instid1(VALU_DEP_4)
	v_dual_fmamk_f32 v18, v12, 0x3f6f5d39, v124 :: v_dual_add_f32 v51, v70, v89
	v_add_f32_e32 v58, v57, v58
	v_fma_f32 v50, v2, v49, -v11
	v_mul_f32_e32 v2, v1, v62
	v_add_f32_e32 v11, v21, v90
	v_dual_mul_f32 v95, 0x3f116cb1, v51 :: v_dual_add_f32 v18, v57, v18
	v_mul_f32_e32 v119, 0xbf29c268, v48
	s_delay_alu instid0(VALU_DEP_4) | instskip(SKIP_4) | instid1(VALU_DEP_4)
	v_fma_f32 v101, v0, v63, -v2
	v_mul_f32_e32 v63, v1, v63
	v_mul_f32_e32 v131, 0xbf6f5d39, v48
	;; [unrolled: 1-line block ×4, first 2 shown]
	v_dual_fmac_f32 v124, 0xbf6f5d39, v12 :: v_dual_fmac_f32 v63, v0, v62
	v_mul_f32_e32 v3, v7, v60
	s_delay_alu instid0(VALU_DEP_1) | instskip(NEXT) | instid1(VALU_DEP_1)
	v_fma_f32 v102, v6, v61, -v3
	v_dual_mul_f32 v61, v7, v61 :: v_dual_add_f32 v104, v101, v102
	s_delay_alu instid0(VALU_DEP_1) | instskip(SKIP_3) | instid1(VALU_DEP_4)
	v_dual_fmac_f32 v61, v6, v60 :: v_dual_sub_f32 v60, v89, v70
	v_dual_add_f32 v13, v14, v13 :: v_dual_fmamk_f32 v14, v8, 0x3f29c268, v52
	v_fmac_f32_e32 v65, v10, v64
	v_sub_f32_e32 v116, v102, v101
	v_mul_f32_e32 v62, 0x3f52af12, v60
	v_dual_mul_f32 v107, 0x3df6dbef, v104 :: v_dual_mul_f32 v114, 0x3df6dbef, v55
	v_dual_add_f32 v13, v14, v13 :: v_dual_mul_f32 v14, v5, v66
	s_delay_alu instid0(VALU_DEP_4)
	v_mul_f32_e32 v118, 0x3f7e222b, v116
	v_sub_f32_e32 v6, v61, v63
	v_mul_f32_e32 v126, 0xbf3f9e67, v55
	v_mul_f32_e32 v138, 0xbf788fa5, v55
	v_fma_f32 v64, v4, v67, -v14
	v_mul_f32_e32 v67, v5, v67
	v_sub_f32_e32 v5, v65, v93
	v_fmamk_f32 v15, v6, 0xbf7e222b, v107
	s_delay_alu instid0(VALU_DEP_4) | instskip(NEXT) | instid1(VALU_DEP_4)
	v_dual_fmamk_f32 v19, v9, 0xbf29c268, v126 :: v_dual_add_f32 v96, v50, v64
	v_fmac_f32_e32 v67, v4, v66
	s_delay_alu instid0(VALU_DEP_4)
	v_fmamk_f32 v10, v5, 0xbf52af12, v95
	v_mul_f32_e32 v105, 0xbe750f2a, v48
	v_fmamk_f32 v17, v9, 0xbf7e222b, v114
	v_mul_f32_e32 v66, 0xbeb58ec6, v96
	v_sub_f32_e32 v4, v67, v94
	v_add_f32_e32 v2, v10, v13
	v_dual_add_f32 v10, v23, v91 :: v_dual_add_f32 v7, v53, v68
	v_mul_f32_e32 v120, 0x3f62ad3f, v96
	s_delay_alu instid0(VALU_DEP_4) | instskip(SKIP_3) | instid1(VALU_DEP_4)
	v_fmamk_f32 v3, v4, 0x3f6f5d39, v66
	v_dual_mul_f32 v125, 0x3e750f2a, v60 :: v_dual_fmamk_f32 v140, v9, 0x3e750f2a, v138
	v_mul_f32_e32 v148, 0xbf3f9e67, v104
	v_mul_f32_e32 v130, 0xbf6f5d39, v116
	v_dual_add_f32 v2, v3, v2 :: v_dual_fmamk_f32 v3, v10, 0xbf788fa5, v105
	v_add_f32_e32 v13, v93, v65
	v_mul_f32_e32 v117, 0xbf788fa5, v51
	v_dual_mul_f32 v133, 0x3f29c268, v106 :: v_dual_fmamk_f32 v150, v6, 0x3f29c268, v148
	s_delay_alu instid0(VALU_DEP_4)
	v_add_f32_e32 v1, v56, v3
	v_fmamk_f32 v3, v11, 0x3f62ad3f, v108
	v_mul_f32_e32 v149, 0x3f116cb1, v87
	v_add_f32_e32 v59, v59, v57
	v_mul_f32_e32 v137, 0xbf7e222b, v60
	v_dual_mul_f32 v141, 0xbeb58ec6, v92 :: v_dual_mul_f32 v152, 0xbeb58ec6, v55
	v_add_f32_e32 v0, v3, v1
	v_fmamk_f32 v1, v7, 0xbf3f9e67, v110
	v_dual_fmamk_f32 v3, v12, 0x3f29c268, v112 :: v_dual_add_f32 v14, v94, v67
	v_fmamk_f32 v151, v12, 0x3f52af12, v149
	v_fmamk_f32 v154, v9, 0x3f6f5d39, v152
	s_delay_alu instid0(VALU_DEP_4)
	v_add_f32_e32 v0, v1, v0
	v_fmamk_f32 v1, v13, 0x3f116cb1, v62
	v_add_f32_e32 v3, v57, v3
	v_fmamk_f32 v145, v10, 0x3df6dbef, v143
	v_mul_f32_e32 v164, 0x3f116cb1, v55
	v_mul_f32_e32 v166, 0x3eedf032, v116
	v_dual_add_f32 v0, v1, v0 :: v_dual_add_f32 v1, v15, v2
	v_dual_add_f32 v15, v63, v61 :: v_dual_add_f32 v2, v17, v3
	v_dual_sub_f32 v111, v64, v50 :: v_dual_mul_f32 v122, 0xbf52af12, v109
	v_mul_f32_e32 v134, 0x3eedf032, v109
	v_fmamk_f32 v17, v10, 0xbf3f9e67, v119
	v_mul_f32_e32 v123, 0xbeb58ec6, v104
	s_delay_alu instid0(VALU_DEP_4) | instskip(SKIP_3) | instid1(VALU_DEP_4)
	v_mul_f32_e32 v127, 0x3eedf032, v111
	v_mul_f32_e32 v147, 0x3f6f5d39, v109
	;; [unrolled: 1-line block ×3, first 2 shown]
	v_dual_mul_f32 v142, 0x3f52af12, v116 :: v_dual_fmamk_f32 v165, v9, 0x3f52af12, v164
	v_fmamk_f32 v49, v14, 0x3f62ad3f, v127
	v_fmamk_f32 v3, v8, 0x3f52af12, v115
	v_mul_f32_e32 v157, 0x3df6dbef, v96
	v_fmac_f32_e32 v71, 0x3eedf032, v9
	v_fmac_f32_e32 v66, 0xbf6f5d39, v4
	;; [unrolled: 1-line block ×3, first 2 shown]
	v_dual_add_f32 v2, v3, v2 :: v_dual_fmamk_f32 v3, v5, 0xbe750f2a, v117
	v_add_f32_e32 v59, v69, v59
	v_mul_f32_e32 v159, 0xbf6f5d39, v106
	v_fmamk_f32 v161, v4, 0xbf7e222b, v157
	v_fmac_f32_e32 v52, 0xbf29c268, v8
	v_dual_add_f32 v2, v3, v2 :: v_dual_fmamk_f32 v3, v4, 0xbeedf032, v120
	v_mul_f32_e32 v113, 0xbf6f5d39, v111
	v_mul_f32_e32 v129, 0x3df6dbef, v51
	v_add_f32_e32 v54, v54, v59
	v_dual_add_f32 v151, v57, v151 :: v_dual_fmamk_f32 v162, v11, 0xbeb58ec6, v159
	v_add_f32_e32 v2, v3, v2
	v_fmamk_f32 v16, v14, 0xbeb58ec6, v113
	s_delay_alu instid0(VALU_DEP_4) | instskip(SKIP_1) | instid1(VALU_DEP_3)
	v_dual_mul_f32 v153, 0xbf52af12, v111 :: v_dual_add_f32 v54, v89, v54
	v_mul_f32_e32 v135, 0x3f116cb1, v104
	v_dual_mul_f32 v163, 0xbe750f2a, v109 :: v_dual_add_f32 v0, v16, v0
	v_fmamk_f32 v16, v15, 0x3df6dbef, v118
	s_delay_alu instid0(VALU_DEP_4) | instskip(SKIP_2) | instid1(VALU_DEP_4)
	v_dual_add_f32 v54, v64, v54 :: v_dual_mul_f32 v155, 0xbf788fa5, v92
	v_mul_f32_e32 v139, 0x3e750f2a, v111
	v_fmamk_f32 v156, v14, 0x3f116cb1, v153
	v_add_f32_e32 v0, v16, v0
	v_dual_add_f32 v16, v56, v17 :: v_dual_fmamk_f32 v17, v11, 0x3df6dbef, v121
	v_dual_mul_f32 v87, 0x3f62ad3f, v87 :: v_dual_add_f32 v54, v102, v54
	v_mul_f32_e32 v64, 0xbf29c268, v111
	v_add_f32_e32 v69, v56, v91
	s_delay_alu instid0(VALU_DEP_4) | instskip(SKIP_1) | instid1(VALU_DEP_3)
	v_dual_add_f32 v3, v17, v16 :: v_dual_fmamk_f32 v16, v7, 0x3f116cb1, v122
	v_fmamk_f32 v17, v6, 0x3f6f5d39, v123
	v_dual_fmac_f32 v120, 0x3eedf032, v4 :: v_dual_add_f32 v59, v90, v69
	s_delay_alu instid0(VALU_DEP_3) | instskip(SKIP_1) | instid1(VALU_DEP_3)
	v_dual_mul_f32 v90, 0xbf7e222b, v109 :: v_dual_add_f32 v3, v16, v3
	v_fmamk_f32 v16, v13, 0xbf788fa5, v125
	v_dual_mul_f32 v92, 0x3df6dbef, v92 :: v_dual_add_f32 v59, v68, v59
	v_add_f32_e32 v54, v101, v54
	s_delay_alu instid0(VALU_DEP_3) | instskip(SKIP_2) | instid1(VALU_DEP_3)
	v_dual_mul_f32 v91, 0xbf52af12, v106 :: v_dual_add_f32 v16, v16, v3
	v_add_f32_e32 v3, v17, v2
	v_dual_add_f32 v2, v19, v18 :: v_dual_fmamk_f32 v17, v8, 0xbeedf032, v128
	v_dual_fmamk_f32 v19, v10, 0xbeb58ec6, v131 :: v_dual_add_f32 v16, v49, v16
	v_dual_add_f32 v59, v65, v59 :: v_dual_add_f32 v50, v50, v54
	s_delay_alu instid0(VALU_DEP_3) | instskip(SKIP_2) | instid1(VALU_DEP_4)
	v_add_f32_e32 v2, v17, v2
	v_fmamk_f32 v17, v5, 0x3f7e222b, v129
	v_fmamk_f32 v69, v11, 0x3f116cb1, v91
	v_add_f32_e32 v59, v67, v59
	v_fmamk_f32 v68, v7, 0x3df6dbef, v90
	v_mul_f32_e32 v67, 0xbe750f2a, v116
	v_dual_add_f32 v17, v17, v2 :: v_dual_mul_f32 v132, 0xbf788fa5, v96
	s_delay_alu instid0(VALU_DEP_4) | instskip(SKIP_2) | instid1(VALU_DEP_3)
	v_dual_fmamk_f32 v18, v15, 0xbeb58ec6, v130 :: v_dual_add_f32 v59, v61, v59
	v_fmac_f32_e32 v95, 0x3f52af12, v5
	v_fmac_f32_e32 v112, 0xbf29c268, v12
	v_dual_fmamk_f32 v49, v4, 0xbe750f2a, v132 :: v_dual_add_f32 v2, v18, v16
	v_add_f32_e32 v16, v56, v19
	v_fmamk_f32 v18, v11, 0xbf3f9e67, v133
	v_fmamk_f32 v19, v6, 0xbf52af12, v135
	s_delay_alu instid0(VALU_DEP_4) | instskip(SKIP_1) | instid1(VALU_DEP_4)
	v_add_f32_e32 v17, v49, v17
	v_dual_fmamk_f32 v49, v12, 0x3f7e222b, v136 :: v_dual_add_f32 v54, v63, v59
	v_add_f32_e32 v16, v18, v16
	v_fmamk_f32 v18, v7, 0x3f62ad3f, v134
	s_delay_alu instid0(VALU_DEP_4) | instskip(NEXT) | instid1(VALU_DEP_4)
	v_add_f32_e32 v17, v19, v17
	v_dual_add_f32 v49, v57, v49 :: v_dual_add_f32 v54, v94, v54
	s_delay_alu instid0(VALU_DEP_3) | instskip(NEXT) | instid1(VALU_DEP_2)
	v_dual_fmamk_f32 v59, v15, 0xbf788fa5, v67 :: v_dual_add_f32 v16, v18, v16
	v_dual_fmamk_f32 v18, v13, 0x3df6dbef, v137 :: v_dual_add_f32 v19, v140, v49
	v_mul_f32_e32 v140, 0x3f62ad3f, v51
	s_delay_alu instid0(VALU_DEP_4) | instskip(NEXT) | instid1(VALU_DEP_3)
	v_dual_fmamk_f32 v49, v8, 0xbf6f5d39, v141 :: v_dual_add_f32 v54, v93, v54
	v_add_f32_e32 v16, v18, v16
	v_fmamk_f32 v18, v14, 0xbf788fa5, v139
	v_mul_f32_e32 v96, 0xbf3f9e67, v96
	s_delay_alu instid0(VALU_DEP_4) | instskip(SKIP_1) | instid1(VALU_DEP_4)
	v_dual_fmac_f32 v126, 0x3f29c268, v9 :: v_dual_add_f32 v53, v53, v54
	v_add_f32_e32 v54, v71, v58
	v_add_f32_e32 v16, v18, v16
	;; [unrolled: 1-line block ×3, first 2 shown]
	v_fmamk_f32 v19, v5, 0xbeedf032, v140
	v_fmamk_f32 v106, v4, 0x3f29c268, v96
	v_fma_f32 v58, 0xbf3f9e67, v7, -v110
	v_add_f32_e32 v52, v52, v54
	v_fma_f32 v54, 0x3f116cb1, v13, -v62
	v_dual_add_f32 v18, v19, v18 :: v_dual_fmamk_f32 v19, v4, 0x3f52af12, v144
	v_fmamk_f32 v49, v15, 0x3f116cb1, v142
	v_fmac_f32_e32 v128, 0x3eedf032, v8
	v_fmac_f32_e32 v107, 0x3f7e222b, v6
	;; [unrolled: 1-line block ×3, first 2 shown]
	v_add_f32_e32 v18, v19, v18
	v_dual_add_f32 v16, v49, v16 :: v_dual_add_f32 v49, v56, v145
	v_fmamk_f32 v145, v11, 0xbf788fa5, v146
	v_fmac_f32_e32 v115, 0xbf52af12, v8
	v_fmac_f32_e32 v138, 0xbe750f2a, v9
	;; [unrolled: 1-line block ×3, first 2 shown]
	s_delay_alu instid0(VALU_DEP_4) | instskip(SKIP_4) | instid1(VALU_DEP_4)
	v_dual_fmac_f32 v136, 0xbf7e222b, v12 :: v_dual_add_f32 v19, v145, v49
	v_fmamk_f32 v49, v7, 0xbeb58ec6, v147
	v_mul_f32_e32 v145, 0x3eedf032, v60
	v_fmac_f32_e32 v117, 0x3e750f2a, v5
	v_fmac_f32_e32 v144, 0xbf52af12, v4
	v_dual_fmac_f32 v152, 0xbf6f5d39, v9 :: v_dual_add_f32 v19, v49, v19
	s_delay_alu instid0(VALU_DEP_4) | instskip(SKIP_1) | instid1(VALU_DEP_2)
	v_fmamk_f32 v49, v13, 0x3f62ad3f, v145
	v_fmac_f32_e32 v148, 0xbf29c268, v6
	v_dual_fmac_f32 v96, 0xbf29c268, v4 :: v_dual_add_f32 v49, v49, v19
	v_add_f32_e32 v19, v150, v18
	v_add_f32_e32 v18, v154, v151
	v_fmamk_f32 v150, v8, 0x3e750f2a, v155
	v_mul_f32_e32 v151, 0xbf3f9e67, v51
	v_dual_mul_f32 v154, 0xbf52af12, v48 :: v_dual_add_f32 v49, v156, v49
	v_mul_f32_e32 v156, 0xbf29c268, v116
	s_delay_alu instid0(VALU_DEP_4) | instskip(NEXT) | instid1(VALU_DEP_4)
	v_add_f32_e32 v18, v150, v18
	v_fmamk_f32 v150, v5, 0xbf29c268, v151
	s_delay_alu instid0(VALU_DEP_4) | instskip(SKIP_2) | instid1(VALU_DEP_4)
	v_fmamk_f32 v158, v10, 0x3f116cb1, v154
	v_fma_f32 v62, 0x3f116cb1, v10, -v154
	v_fmamk_f32 v160, v15, 0xbf3f9e67, v156
	v_dual_fmac_f32 v141, 0x3f6f5d39, v8 :: v_dual_add_f32 v150, v150, v18
	s_delay_alu instid0(VALU_DEP_4) | instskip(NEXT) | instid1(VALU_DEP_4)
	v_add_f32_e32 v158, v56, v158
	v_add_f32_e32 v62, v56, v62
	s_delay_alu instid0(VALU_DEP_4) | instskip(NEXT) | instid1(VALU_DEP_4)
	v_add_f32_e32 v18, v160, v49
	v_dual_mul_f32 v160, 0x3f29c268, v60 :: v_dual_add_f32 v49, v161, v150
	s_delay_alu instid0(VALU_DEP_4)
	v_add_f32_e32 v150, v162, v158
	v_fmamk_f32 v158, v7, 0xbf788fa5, v163
	v_fmamk_f32 v162, v12, 0x3eedf032, v87
	v_mul_f32_e32 v161, 0x3f62ad3f, v104
	v_fmac_f32_e32 v129, 0xbf7e222b, v5
	v_fma_f32 v63, 0xbf3f9e67, v15, -v156
	v_dual_add_f32 v55, v158, v150 :: v_dual_fmamk_f32 v150, v13, 0xbf3f9e67, v160
	v_mul_f32_e32 v158, 0x3f7e222b, v111
	v_dual_add_f32 v162, v57, v162 :: v_dual_fmac_f32 v151, 0x3f29c268, v5
	s_delay_alu instid0(VALU_DEP_3) | instskip(NEXT) | instid1(VALU_DEP_3)
	v_dual_fmac_f32 v164, 0xbf52af12, v9 :: v_dual_add_f32 v55, v150, v55
	v_fmamk_f32 v150, v14, 0x3df6dbef, v158
	s_delay_alu instid0(VALU_DEP_3) | instskip(SKIP_2) | instid1(VALU_DEP_4)
	v_dual_add_f32 v162, v165, v162 :: v_dual_fmamk_f32 v165, v8, 0x3f7e222b, v92
	v_fmac_f32_e32 v157, 0x3f7e222b, v4
	v_fma_f32 v9, 0xbf3f9e67, v13, -v160
	v_dual_add_f32 v55, v150, v55 :: v_dual_fmamk_f32 v150, v15, 0x3f62ad3f, v166
	s_delay_alu instid0(VALU_DEP_4) | instskip(NEXT) | instid1(VALU_DEP_2)
	v_add_f32_e32 v162, v165, v162
	v_add_f32_e32 v48, v150, v55
	v_fmamk_f32 v55, v10, 0x3f62ad3f, v168
	s_delay_alu instid0(VALU_DEP_1) | instskip(NEXT) | instid1(VALU_DEP_1)
	v_add_f32_e32 v55, v56, v55
	v_add_f32_e32 v55, v69, v55
	v_mul_f32_e32 v69, 0xbf6f5d39, v60
	v_mul_f32_e32 v167, 0xbeb58ec6, v51
	s_delay_alu instid0(VALU_DEP_2) | instskip(NEXT) | instid1(VALU_DEP_2)
	v_dual_add_f32 v55, v68, v55 :: v_dual_fmamk_f32 v60, v13, 0xbeb58ec6, v69
	v_fmamk_f32 v165, v5, 0x3f6f5d39, v167
	s_delay_alu instid0(VALU_DEP_2) | instskip(NEXT) | instid1(VALU_DEP_1)
	v_dual_add_f32 v55, v60, v55 :: v_dual_fmamk_f32 v60, v14, 0xbf3f9e67, v64
	v_add_f32_e32 v55, v60, v55
	v_fmamk_f32 v51, v6, 0xbeedf032, v161
	v_add_f32_e32 v60, v70, v50
	s_delay_alu instid0(VALU_DEP_3) | instskip(NEXT) | instid1(VALU_DEP_3)
	v_add_f32_e32 v50, v59, v55
	v_add_f32_e32 v49, v51, v49
	;; [unrolled: 1-line block ×3, first 2 shown]
	v_fma_f32 v55, 0xbf788fa5, v10, -v105
	v_add_f32_e32 v20, v20, v60
	v_fma_f32 v59, 0x3f62ad3f, v11, -v108
	v_fma_f32 v60, 0x3f62ad3f, v7, -v134
	v_add_f32_e32 v51, v106, v51
	s_delay_alu instid0(VALU_DEP_4) | instskip(NEXT) | instid1(VALU_DEP_1)
	v_dual_add_f32 v55, v56, v55 :: v_dual_add_f32 v20, v22, v20
	v_dual_add_f32 v55, v59, v55 :: v_dual_add_f32 v22, v88, v20
	v_add_f32_e32 v20, v21, v53
	v_fma_f32 v59, 0xbf3f9e67, v11, -v133
	s_delay_alu instid0(VALU_DEP_3) | instskip(SKIP_1) | instid1(VALU_DEP_4)
	v_add_f32_e32 v53, v58, v55
	v_add_f32_e32 v55, v57, v124
	;; [unrolled: 1-line block ×4, first 2 shown]
	v_fma_f32 v52, 0xbeb58ec6, v14, -v113
	v_add_f32_e32 v23, v54, v53
	v_add_f32_e32 v53, v57, v112
	v_mul_f32_e32 v65, 0xbf788fa5, v104
	v_add_f32_e32 v20, v66, v20
	v_add_f32_e32 v55, v126, v55
	;; [unrolled: 1-line block ×3, first 2 shown]
	v_fma_f32 v52, 0x3df6dbef, v15, -v118
	s_delay_alu instid0(VALU_DEP_4) | instskip(SKIP_1) | instid1(VALU_DEP_3)
	v_dual_add_f32 v54, v114, v53 :: v_dual_add_f32 v53, v107, v20
	v_fma_f32 v20, 0xbf3f9e67, v10, -v119
	v_dual_fmamk_f32 v61, v6, 0x3e750f2a, v65 :: v_dual_add_f32 v52, v52, v23
	s_delay_alu instid0(VALU_DEP_3) | instskip(SKIP_1) | instid1(VALU_DEP_3)
	v_add_f32_e32 v23, v115, v54
	v_fma_f32 v54, 0x3df6dbef, v11, -v121
	v_dual_add_f32 v20, v56, v20 :: v_dual_add_f32 v51, v61, v51
	v_fma_f32 v61, 0xbf788fa5, v11, -v146
	v_add_f32_e32 v58, v128, v55
	v_fma_f32 v66, 0xbeb58ec6, v11, -v159
	s_delay_alu instid0(VALU_DEP_4) | instskip(SKIP_3) | instid1(VALU_DEP_3)
	v_add_f32_e32 v20, v54, v20
	v_fma_f32 v54, 0x3f116cb1, v7, -v122
	v_fmac_f32_e32 v149, 0xbf52af12, v12
	v_fma_f32 v11, 0x3f116cb1, v11, -v91
	v_dual_fmac_f32 v65, 0xbe750f2a, v6 :: v_dual_add_f32 v20, v54, v20
	v_fma_f32 v54, 0xbf788fa5, v13, -v125
	s_delay_alu instid0(VALU_DEP_1) | instskip(SKIP_1) | instid1(VALU_DEP_1)
	v_add_f32_e32 v20, v54, v20
	v_fma_f32 v54, 0x3f62ad3f, v14, -v127
	v_add_f32_e32 v20, v54, v20
	v_fma_f32 v54, 0xbeb58ec6, v15, -v130
	s_delay_alu instid0(VALU_DEP_1) | instskip(SKIP_1) | instid1(VALU_DEP_1)
	v_add_f32_e32 v54, v54, v20
	v_fma_f32 v20, 0x3df6dbef, v10, -v143
	v_dual_add_f32 v23, v117, v23 :: v_dual_add_f32 v20, v56, v20
	s_delay_alu instid0(VALU_DEP_1) | instskip(NEXT) | instid1(VALU_DEP_2)
	v_add_f32_e32 v23, v120, v23
	v_dual_fmac_f32 v123, 0xbf6f5d39, v6 :: v_dual_add_f32 v20, v61, v20
	v_fma_f32 v61, 0xbeb58ec6, v7, -v147
	s_delay_alu instid0(VALU_DEP_2)
	v_add_f32_e32 v55, v123, v23
	v_fma_f32 v23, 0xbeb58ec6, v10, -v131
	v_fma_f32 v10, 0x3f62ad3f, v10, -v168
	v_fmac_f32_e32 v155, 0xbe750f2a, v8
	v_add_f32_e32 v20, v61, v20
	v_fma_f32 v61, 0x3f62ad3f, v13, -v145
	v_add_f32_e32 v23, v56, v23
	v_fmac_f32_e32 v135, 0x3f52af12, v6
	v_add_f32_e32 v10, v56, v10
	v_fmac_f32_e32 v92, 0xbf7e222b, v8
	s_delay_alu instid0(VALU_DEP_4) | instskip(SKIP_1) | instid1(VALU_DEP_2)
	v_dual_add_f32 v20, v61, v20 :: v_dual_add_f32 v23, v59, v23
	v_add_f32_e32 v61, v57, v149
	v_dual_add_f32 v23, v60, v23 :: v_dual_add_f32 v60, v57, v136
	s_delay_alu instid0(VALU_DEP_1) | instskip(NEXT) | instid1(VALU_DEP_1)
	v_add_f32_e32 v60, v138, v60
	v_add_f32_e32 v60, v141, v60
	;; [unrolled: 1-line block ×3, first 2 shown]
	s_delay_alu instid0(VALU_DEP_1) | instskip(NEXT) | instid1(VALU_DEP_1)
	v_add_f32_e32 v58, v132, v58
	v_add_f32_e32 v59, v135, v58
	v_fma_f32 v58, 0x3df6dbef, v13, -v137
	s_delay_alu instid0(VALU_DEP_1) | instskip(SKIP_1) | instid1(VALU_DEP_1)
	v_add_f32_e32 v23, v58, v23
	v_fma_f32 v58, 0xbf788fa5, v14, -v139
	v_add_f32_e32 v23, v58, v23
	v_fma_f32 v58, 0x3f116cb1, v15, -v142
	s_delay_alu instid0(VALU_DEP_1) | instskip(SKIP_1) | instid1(VALU_DEP_2)
	v_dual_add_f32 v58, v58, v23 :: v_dual_add_f32 v23, v140, v60
	v_fma_f32 v60, 0x3f116cb1, v14, -v153
	v_add_f32_e32 v23, v144, v23
	s_delay_alu instid0(VALU_DEP_2) | instskip(SKIP_1) | instid1(VALU_DEP_3)
	v_add_f32_e32 v20, v60, v20
	v_add_f32_e32 v60, v152, v61
	;; [unrolled: 1-line block ×3, first 2 shown]
	s_delay_alu instid0(VALU_DEP_2) | instskip(NEXT) | instid1(VALU_DEP_4)
	v_add_f32_e32 v23, v155, v60
	v_add_f32_e32 v60, v63, v20
	;; [unrolled: 1-line block ×3, first 2 shown]
	v_fma_f32 v62, 0xbf788fa5, v7, -v163
	v_fma_f32 v7, 0x3df6dbef, v7, -v90
	s_delay_alu instid0(VALU_DEP_2) | instskip(NEXT) | instid1(VALU_DEP_1)
	v_add_f32_e32 v20, v62, v20
	v_dual_add_f32 v8, v9, v20 :: v_dual_add_f32 v9, v11, v10
	v_fma_f32 v10, 0x3df6dbef, v14, -v158
	v_fmac_f32_e32 v167, 0xbf6f5d39, v5
	s_delay_alu instid0(VALU_DEP_2) | instskip(SKIP_3) | instid1(VALU_DEP_3)
	v_dual_add_f32 v5, v7, v9 :: v_dual_add_f32 v8, v10, v8
	v_mul_u32_u24_e32 v10, 26, v100
	v_fma_f32 v7, 0xbeb58ec6, v13, -v69
	v_fmac_f32_e32 v87, 0xbeedf032, v12
	v_or_b32_e32 v10, v10, v99
	s_delay_alu instid0(VALU_DEP_3)
	v_add_f32_e32 v4, v7, v5
	v_fma_f32 v5, 0xbf3f9e67, v14, -v64
	v_fma_f32 v7, 0x3f62ad3f, v15, -v166
	v_fmac_f32_e32 v161, 0x3eedf032, v6
	v_lshlrev_b32_e32 v10, 3, v10
	v_add_f32_e32 v12, v151, v23
	v_add_f32_e32 v6, v5, v4
	v_dual_add_f32 v23, v57, v87 :: v_dual_add_f32 v4, v7, v8
	s_delay_alu instid0(VALU_DEP_1) | instskip(NEXT) | instid1(VALU_DEP_1)
	v_add_f32_e32 v23, v164, v23
	v_add_f32_e32 v11, v92, v23
	s_delay_alu instid0(VALU_DEP_1) | instskip(SKIP_1) | instid1(VALU_DEP_1)
	v_add_f32_e32 v9, v167, v11
	v_fma_f32 v11, 0xbf788fa5, v15, -v67
	v_dual_add_f32 v9, v96, v9 :: v_dual_add_f32 v6, v11, v6
	v_add_f32_e32 v12, v157, v12
	s_delay_alu instid0(VALU_DEP_2) | instskip(NEXT) | instid1(VALU_DEP_2)
	v_add_f32_e32 v7, v65, v9
	v_add_f32_e32 v5, v161, v12
	ds_store_2addr_b64 v10, v[21:22], v[50:51] offset1:2
	ds_store_2addr_b64 v10, v[48:49], v[18:19] offset0:4 offset1:6
	ds_store_2addr_b64 v10, v[16:17], v[2:3] offset0:8 offset1:10
	;; [unrolled: 1-line block ×5, first 2 shown]
	ds_store_b64 v10, v[6:7] offset:192
.LBB0_21:
	s_wait_alu 0xfffe
	s_or_b32 exec_lo, exec_lo, s1
	global_wb scope:SCOPE_SE
	s_wait_dscnt 0x0
	s_barrier_signal -1
	s_barrier_wait -1
	global_inv scope:SCOPE_SE
	ds_load_2addr_b64 v[0:3], v97 offset1:182
	v_add_nc_u32_e32 v14, 0xa00, v97
	v_add_nc_u32_e32 v15, 0x1600, v97
	ds_load_b64 v[12:13], v97 offset:8736
	s_mov_b32 s2, 0xf5262dd1
	s_mov_b32 s3, 0x3f49b876
	s_wait_dscnt 0x1
	v_mul_f32_e32 v16, v33, v3
	v_mul_f32_e32 v17, v33, v2
	ds_load_2addr_b64 v[4:7], v14 offset0:44 offset1:226
	ds_load_2addr_b64 v[8:11], v15 offset0:24 offset1:206
	s_wait_dscnt 0x2
	v_mul_f32_e32 v18, v27, v13
	v_dual_mul_f32 v19, v27, v12 :: v_dual_fmac_f32 v16, v32, v2
	v_fma_f32 v2, v32, v3, -v17
	global_wb scope:SCOPE_SE
	s_wait_dscnt 0x0
	s_barrier_signal -1
	s_barrier_wait -1
	global_inv scope:SCOPE_SE
	v_dual_mul_f32 v3, v35, v5 :: v_dual_mul_f32 v20, v29, v7
	v_mul_f32_e32 v17, v35, v4
	v_dual_mul_f32 v21, v29, v6 :: v_dual_mul_f32 v22, v31, v9
	v_mul_f32_e32 v27, v25, v11
	v_dual_mul_f32 v25, v25, v10 :: v_dual_fmac_f32 v18, v26, v12
	v_mul_f32_e32 v23, v31, v8
	v_fma_f32 v12, v26, v13, -v19
	v_dual_fmac_f32 v3, v34, v4 :: v_dual_fmac_f32 v20, v28, v6
	v_fma_f32 v4, v34, v5, -v17
	v_fma_f32 v5, v28, v7, -v21
	v_dual_fmac_f32 v22, v30, v8 :: v_dual_fmac_f32 v27, v24, v10
	v_fma_f32 v7, v24, v11, -v25
	v_add_f32_e32 v8, v16, v18
	v_fma_f32 v6, v30, v9, -v23
	v_dual_add_f32 v9, v2, v12 :: v_dual_sub_f32 v10, v16, v18
	v_dual_sub_f32 v2, v2, v12 :: v_dual_add_f32 v11, v3, v27
	v_add_f32_e32 v12, v4, v7
	v_dual_sub_f32 v3, v3, v27 :: v_dual_sub_f32 v16, v22, v20
	v_dual_sub_f32 v4, v4, v7 :: v_dual_add_f32 v13, v5, v6
	v_add_f32_e32 v7, v20, v22
	v_dual_sub_f32 v5, v6, v5 :: v_dual_sub_f32 v18, v11, v8
	v_dual_add_f32 v6, v11, v8 :: v_dual_add_f32 v17, v12, v9
	v_sub_f32_e32 v19, v12, v9
	s_delay_alu instid0(VALU_DEP_4)
	v_dual_sub_f32 v8, v8, v7 :: v_dual_sub_f32 v9, v9, v13
	v_dual_sub_f32 v11, v7, v11 :: v_dual_sub_f32 v12, v13, v12
	v_dual_add_f32 v20, v16, v3 :: v_dual_add_f32 v21, v5, v4
	v_dual_sub_f32 v22, v16, v3 :: v_dual_sub_f32 v23, v5, v4
	v_dual_sub_f32 v5, v2, v5 :: v_dual_add_f32 v6, v7, v6
	v_dual_add_f32 v7, v13, v17 :: v_dual_sub_f32 v16, v10, v16
	v_dual_sub_f32 v3, v3, v10 :: v_dual_mul_f32 v8, 0x3f4a47b2, v8
	v_sub_f32_e32 v4, v4, v2
	v_add_f32_e32 v10, v20, v10
	v_dual_add_f32 v2, v21, v2 :: v_dual_mul_f32 v9, 0x3f4a47b2, v9
	v_dual_add_f32 v0, v0, v6 :: v_dual_add_f32 v1, v1, v7
	v_mul_f32_e32 v13, 0x3d64c772, v11
	v_dual_mul_f32 v20, 0x3f08b237, v22 :: v_dual_mul_f32 v21, 0x3f08b237, v23
	v_dual_mul_f32 v22, 0xbf5ff5aa, v3 :: v_dual_mul_f32 v23, 0xbf5ff5aa, v4
	s_delay_alu instid0(VALU_DEP_4) | instskip(SKIP_4) | instid1(VALU_DEP_4)
	v_dual_fmamk_f32 v6, v6, 0xbf955555, v0 :: v_dual_fmamk_f32 v7, v7, 0xbf955555, v1
	v_dual_mul_f32 v17, 0x3d64c772, v12 :: v_dual_fmamk_f32 v12, v12, 0x3d64c772, v9
	v_fma_f32 v13, 0x3f3bfb3b, v18, -v13
	v_fma_f32 v9, 0xbf3bfb3b, v19, -v9
	v_mad_co_u64_u32 v[26:27], null, s4, v98, 0
	v_add_f32_e32 v24, v12, v7
	v_fma_f32 v17, 0x3f3bfb3b, v19, -v17
	v_fmamk_f32 v11, v11, 0x3d64c772, v8
	v_fma_f32 v8, 0xbf3bfb3b, v18, -v8
	v_dual_fmamk_f32 v18, v16, 0xbeae86e6, v20 :: v_dual_fmamk_f32 v19, v5, 0xbeae86e6, v21
	v_fma_f32 v20, 0xbf5ff5aa, v3, -v20
	v_fma_f32 v16, 0x3eae86e6, v16, -v22
	;; [unrolled: 1-line block ×4, first 2 shown]
	v_add_f32_e32 v12, v17, v7
	v_dual_add_f32 v17, v9, v7 :: v_dual_fmac_f32 v18, 0xbee1c552, v10
	v_fmac_f32_e32 v16, 0xbee1c552, v10
	v_fmac_f32_e32 v20, 0xbee1c552, v10
	s_delay_alu instid0(VALU_DEP_3) | instskip(NEXT) | instid1(VALU_DEP_3)
	v_sub_f32_e32 v3, v24, v18
	v_dual_sub_f32 v5, v17, v16 :: v_dual_fmac_f32 v22, 0xbee1c552, v2
	s_delay_alu instid0(VALU_DEP_3)
	v_add_f32_e32 v7, v20, v12
	v_add_f32_e32 v23, v11, v6
	v_fmac_f32_e32 v21, 0xbee1c552, v2
	v_fmac_f32_e32 v19, 0xbee1c552, v2
	v_add_f32_e32 v11, v13, v6
	v_add_f32_e32 v13, v8, v6
	s_delay_alu instid0(VALU_DEP_1) | instskip(NEXT) | instid1(VALU_DEP_4)
	v_dual_sub_f32 v9, v12, v20 :: v_dual_add_f32 v4, v22, v13
	v_add_f32_e32 v2, v19, v23
	s_delay_alu instid0(VALU_DEP_4)
	v_add_f32_e32 v8, v21, v11
	v_sub_f32_e32 v12, v23, v19
	v_sub_f32_e32 v6, v11, v21
	v_dual_sub_f32 v10, v13, v22 :: v_dual_add_f32 v11, v16, v17
	v_add_f32_e32 v13, v18, v24
	ds_store_2addr_b64 v103, v[0:1], v[2:3] offset1:26
	ds_store_2addr_b64 v103, v[4:5], v[6:7] offset0:52 offset1:78
	ds_store_2addr_b64 v103, v[8:9], v[10:11] offset0:104 offset1:130
	ds_store_b64 v103, v[12:13] offset:1248
	global_wb scope:SCOPE_SE
	s_wait_dscnt 0x0
	s_barrier_signal -1
	s_barrier_wait -1
	global_inv scope:SCOPE_SE
	ds_load_2addr_b64 v[0:3], v97 offset1:182
	ds_load_2addr_b64 v[4:7], v14 offset0:44 offset1:226
	ds_load_2addr_b64 v[8:11], v15 offset0:24 offset1:206
	ds_load_b64 v[12:13], v97 offset:8736
	s_wait_dscnt 0x3
	v_mul_f32_e32 v16, v45, v3
	s_wait_dscnt 0x1
	v_dual_mul_f32 v17, v45, v2 :: v_dual_mul_f32 v20, v43, v9
	v_mul_f32_e32 v18, v41, v7
	v_mul_f32_e32 v19, v41, v6
	v_fmac_f32_e32 v16, v44, v2
	s_delay_alu instid0(VALU_DEP_4)
	v_fma_f32 v2, v44, v3, -v17
	v_mul_f32_e32 v3, v47, v5
	v_dual_mul_f32 v17, v47, v4 :: v_dual_fmac_f32 v18, v40, v6
	s_wait_dscnt 0x0
	v_mul_f32_e32 v6, v39, v13
	v_fmac_f32_e32 v20, v42, v8
	v_fmac_f32_e32 v3, v46, v4
	v_fma_f32 v4, v46, v5, -v17
	v_fma_f32 v5, v40, v7, -v19
	v_dual_mul_f32 v8, v43, v8 :: v_dual_mul_f32 v17, v37, v11
	v_dual_mul_f32 v19, v37, v10 :: v_dual_fmac_f32 v6, v38, v12
	v_mul_f32_e32 v7, v39, v12
	s_delay_alu instid0(VALU_DEP_3) | instskip(NEXT) | instid1(VALU_DEP_4)
	v_fma_f32 v8, v42, v9, -v8
	v_fmac_f32_e32 v17, v36, v10
	s_delay_alu instid0(VALU_DEP_4) | instskip(SKIP_3) | instid1(VALU_DEP_4)
	v_fma_f32 v9, v36, v11, -v19
	v_add_f32_e32 v10, v16, v6
	v_fma_f32 v7, v38, v13, -v7
	v_dual_sub_f32 v6, v16, v6 :: v_dual_add_f32 v13, v5, v8
	v_add_f32_e32 v12, v4, v9
	s_delay_alu instid0(VALU_DEP_3) | instskip(SKIP_3) | instid1(VALU_DEP_3)
	v_dual_sub_f32 v4, v4, v9 :: v_dual_add_f32 v11, v2, v7
	v_dual_sub_f32 v2, v2, v7 :: v_dual_add_f32 v7, v3, v17
	;; [unrolled: 1-line block ×3, first 2 shown]
	v_sub_f32_e32 v3, v3, v17
	v_dual_sub_f32 v5, v8, v5 :: v_dual_add_f32 v8, v7, v10
	v_dual_add_f32 v17, v12, v11 :: v_dual_sub_f32 v18, v7, v10
	s_delay_alu instid0(VALU_DEP_4)
	v_dual_sub_f32 v19, v12, v11 :: v_dual_sub_f32 v10, v10, v9
	v_sub_f32_e32 v7, v9, v7
	v_dual_sub_f32 v12, v13, v12 :: v_dual_sub_f32 v11, v11, v13
	v_dual_add_f32 v20, v16, v3 :: v_dual_add_f32 v21, v5, v4
	v_dual_sub_f32 v22, v16, v3 :: v_dual_sub_f32 v23, v5, v4
	v_dual_sub_f32 v4, v4, v2 :: v_dual_sub_f32 v5, v2, v5
	v_add_f32_e32 v8, v9, v8
	v_dual_add_f32 v9, v13, v17 :: v_dual_sub_f32 v16, v6, v16
	v_sub_f32_e32 v3, v3, v6
	v_add_f32_e32 v6, v20, v6
	s_delay_alu instid0(VALU_DEP_4) | instskip(SKIP_4) | instid1(VALU_DEP_3)
	v_add_f32_e32 v0, v0, v8
	v_dual_add_f32 v2, v21, v2 :: v_dual_mul_f32 v11, 0x3f4a47b2, v11
	v_dual_add_f32 v1, v1, v9 :: v_dual_mul_f32 v10, 0x3f4a47b2, v10
	v_mul_f32_e32 v13, 0x3d64c772, v7
	v_dual_mul_f32 v20, 0x3f08b237, v22 :: v_dual_mul_f32 v21, 0x3f08b237, v23
	v_dual_fmamk_f32 v8, v8, 0xbf955555, v0 :: v_dual_fmamk_f32 v9, v9, 0xbf955555, v1
	v_dual_mul_f32 v17, 0x3d64c772, v12 :: v_dual_fmamk_f32 v12, v12, 0x3d64c772, v11
	v_dual_mul_f32 v22, 0xbf5ff5aa, v3 :: v_dual_mul_f32 v23, 0xbf5ff5aa, v4
	v_fma_f32 v13, 0x3f3bfb3b, v18, -v13
	v_fmamk_f32 v7, v7, 0x3d64c772, v10
	v_fma_f32 v10, 0xbf3bfb3b, v18, -v10
	v_fma_f32 v11, 0xbf3bfb3b, v19, -v11
	v_fmamk_f32 v18, v16, 0xbeae86e6, v20
	v_fma_f32 v20, 0xbf5ff5aa, v3, -v20
	v_add_f32_e32 v24, v12, v9
	v_fma_f32 v17, 0x3f3bfb3b, v19, -v17
	v_fmamk_f32 v19, v5, 0xbeae86e6, v21
	v_fma_f32 v21, 0xbf5ff5aa, v4, -v21
	v_fma_f32 v16, 0x3eae86e6, v16, -v22
	;; [unrolled: 1-line block ×3, first 2 shown]
	v_add_f32_e32 v12, v13, v8
	v_dual_add_f32 v13, v17, v9 :: v_dual_add_f32 v10, v10, v8
	v_dual_add_f32 v11, v11, v9 :: v_dual_fmac_f32 v20, 0xbee1c552, v6
	v_dual_add_f32 v23, v7, v8 :: v_dual_fmac_f32 v18, 0xbee1c552, v6
	v_fmac_f32_e32 v21, 0xbee1c552, v2
	v_fmac_f32_e32 v19, 0xbee1c552, v2
	s_delay_alu instid0(VALU_DEP_4) | instskip(SKIP_1) | instid1(VALU_DEP_4)
	v_dual_fmac_f32 v16, 0xbee1c552, v6 :: v_dual_add_f32 v7, v20, v13
	v_fmac_f32_e32 v22, 0xbee1c552, v2
	v_sub_f32_e32 v6, v12, v21
	s_delay_alu instid0(VALU_DEP_4) | instskip(NEXT) | instid1(VALU_DEP_4)
	v_add_f32_e32 v2, v19, v23
	v_sub_f32_e32 v5, v11, v16
	v_dual_sub_f32 v3, v24, v18 :: v_dual_add_f32 v8, v21, v12
	v_dual_add_f32 v4, v22, v10 :: v_dual_sub_f32 v9, v13, v20
	v_dual_sub_f32 v10, v10, v22 :: v_dual_add_f32 v11, v16, v11
	v_dual_sub_f32 v12, v23, v19 :: v_dual_add_f32 v13, v18, v24
	ds_store_2addr_b64 v97, v[0:1], v[2:3] offset1:182
	ds_store_2addr_b64 v14, v[4:5], v[6:7] offset0:44 offset1:226
	ds_store_2addr_b64 v15, v[8:9], v[10:11] offset0:24 offset1:206
	ds_store_b64 v97, v[12:13] offset:8736
	global_wb scope:SCOPE_SE
	s_wait_dscnt 0x0
	s_barrier_signal -1
	s_barrier_wait -1
	global_inv scope:SCOPE_SE
	ds_load_2addr_b64 v[0:3], v97 offset1:182
	v_add_nc_u32_e32 v4, 0x1200, v97
	ds_load_b64 v[10:11], v97 offset:8008
	v_mad_co_u64_u32 v[24:25], null, s6, v72, 0
	s_delay_alu instid0(VALU_DEP_1) | instskip(NEXT) | instid1(VALU_DEP_1)
	v_mad_co_u64_u32 v[28:29], null, s7, v72, v[25:26]
	v_mov_b32_e32 v25, v28
	s_wait_dscnt 0x1
	v_mul_f32_e32 v9, v86, v0
	ds_load_2addr_b64 v[4:7], v4 offset0:61 offset1:243
	v_mul_f32_e32 v8, v86, v1
	s_wait_dscnt 0x1
	v_dual_mul_f32 v16, v78, v3 :: v_dual_mul_f32 v23, v84, v10
	v_fma_f32 v12, v85, v1, -v9
	v_dual_mul_f32 v17, v78, v2 :: v_dual_mul_f32 v22, v84, v11
	s_delay_alu instid0(VALU_DEP_3) | instskip(NEXT) | instid1(VALU_DEP_4)
	v_fmac_f32_e32 v16, v77, v2
	v_fma_f32 v23, v83, v11, -v23
	s_delay_alu instid0(VALU_DEP_4) | instskip(NEXT) | instid1(VALU_DEP_4)
	v_cvt_f64_f32_e32 v[12:13], v12
	v_fma_f32 v17, v77, v3, -v17
	v_fmac_f32_e32 v22, v83, v10
	v_mad_co_u64_u32 v[27:28], null, s5, v98, v[27:28]
	v_lshlrev_b64_e32 v[24:25], 3, v[24:25]
	s_wait_dscnt 0x0
	v_mul_f32_e32 v15, v76, v4
	v_fmac_f32_e32 v8, v85, v0
	ds_load_b64 v[0:1], v97 offset:2912
	v_mul_f32_e32 v18, v80, v7
	v_mul_f32_e32 v14, v76, v5
	v_add_co_u32 v24, s0, s8, v24
	v_cvt_f64_f32_e32 v[8:9], v8
	s_delay_alu instid0(VALU_DEP_4)
	v_fmac_f32_e32 v18, v79, v6
	v_mul_f32_e32 v6, v80, v6
	s_wait_alu 0xf1ff
	v_add_co_ci_u32_e64 v25, s0, s9, v25, s0
	s_movk_i32 s8, 0xfe39
	v_cvt_f64_f32_e32 v[18:19], v18
	v_fma_f32 v6, v79, v7, -v6
	s_mov_b32 s9, -1
	s_wait_dscnt 0x0
	v_mul_f32_e32 v21, v82, v0
	v_mul_f32_e32 v20, v82, v1
	v_fmac_f32_e32 v14, v75, v4
	v_fma_f32 v4, v75, v5, -v15
	s_delay_alu instid0(VALU_DEP_4) | instskip(NEXT) | instid1(VALU_DEP_4)
	v_fma_f32 v21, v81, v1, -v21
	v_fmac_f32_e32 v20, v81, v0
	s_delay_alu instid0(VALU_DEP_4) | instskip(NEXT) | instid1(VALU_DEP_4)
	v_cvt_f64_f32_e32 v[2:3], v14
	v_cvt_f64_f32_e32 v[4:5], v4
	;; [unrolled: 1-line block ×9, first 2 shown]
	s_wait_alu 0xfffe
	v_mul_f64_e32 v[12:13], s[2:3], v[12:13]
	v_mul_f64_e32 v[8:9], s[2:3], v[8:9]
	;; [unrolled: 1-line block ×12, first 2 shown]
	v_cvt_f32_f64_e32 v8, v[8:9]
	v_cvt_f32_f64_e32 v9, v[12:13]
	v_lshlrev_b64_e32 v[12:13], 3, v[26:27]
	v_cvt_f32_f64_e32 v2, v[2:3]
	v_cvt_f32_f64_e32 v3, v[4:5]
	;; [unrolled: 1-line block ×10, first 2 shown]
	v_add_co_u32 v0, s0, v24, v12
	s_wait_alu 0xf1ff
	v_add_co_ci_u32_e64 v1, s0, v25, v13, s0
	s_mul_u64 s[0:1], s[4:5], 0x27d
	s_mul_u64 s[4:5], s[4:5], s[8:9]
	s_wait_alu 0xfffe
	s_lshl_b64 s[6:7], s[0:1], 3
	s_lshl_b64 s[4:5], s[4:5], 3
	s_wait_alu 0xfffe
	v_add_co_u32 v12, s0, v0, s6
	s_wait_alu 0xf1ff
	v_add_co_ci_u32_e64 v13, s0, s7, v1, s0
	global_store_b64 v[0:1], v[8:9], off
	v_add_co_u32 v16, s0, v12, s4
	s_wait_alu 0xf1ff
	v_add_co_ci_u32_e64 v17, s0, s5, v13, s0
	s_delay_alu instid0(VALU_DEP_2) | instskip(SKIP_1) | instid1(VALU_DEP_2)
	v_add_co_u32 v18, s0, v16, s6
	s_wait_alu 0xf1ff
	v_add_co_ci_u32_e64 v19, s0, s7, v17, s0
	s_delay_alu instid0(VALU_DEP_2) | instskip(SKIP_1) | instid1(VALU_DEP_2)
	;; [unrolled: 4-line block ×3, first 2 shown]
	v_add_co_u32 v0, s0, v20, s6
	s_wait_alu 0xf1ff
	v_add_co_ci_u32_e64 v1, s0, s7, v21, s0
	s_clause 0x3
	global_store_b64 v[12:13], v[2:3], off
	global_store_b64 v[16:17], v[4:5], off
	;; [unrolled: 1-line block ×5, first 2 shown]
	s_and_b32 exec_lo, exec_lo, vcc_lo
	s_cbranch_execz .LBB0_23
; %bb.22:
	s_clause 0x1
	global_load_b64 v[2:3], v[73:74], off offset:4368
	global_load_b64 v[4:5], v[73:74], off offset:9464
	ds_load_b64 v[6:7], v97 offset:4368
	ds_load_b64 v[8:9], v97 offset:9464
	v_add_co_u32 v0, vcc_lo, v0, s4
	s_wait_alu 0xfffd
	v_add_co_ci_u32_e32 v1, vcc_lo, s5, v1, vcc_lo
	s_wait_loadcnt_dscnt 0x0
	v_dual_mul_f32 v10, v7, v3 :: v_dual_mul_f32 v11, v9, v5
	v_mul_f32_e32 v3, v6, v3
	s_delay_alu instid0(VALU_DEP_2) | instskip(NEXT) | instid1(VALU_DEP_3)
	v_dual_mul_f32 v5, v8, v5 :: v_dual_fmac_f32 v10, v6, v2
	v_fmac_f32_e32 v11, v8, v4
	s_delay_alu instid0(VALU_DEP_3) | instskip(NEXT) | instid1(VALU_DEP_3)
	v_fma_f32 v6, v2, v7, -v3
	v_fma_f32 v8, v4, v9, -v5
	s_delay_alu instid0(VALU_DEP_4) | instskip(NEXT) | instid1(VALU_DEP_3)
	v_cvt_f64_f32_e32 v[2:3], v10
	v_cvt_f64_f32_e32 v[4:5], v6
	;; [unrolled: 1-line block ×3, first 2 shown]
	s_delay_alu instid0(VALU_DEP_4) | instskip(NEXT) | instid1(VALU_DEP_4)
	v_cvt_f64_f32_e32 v[8:9], v8
	v_mul_f64_e32 v[2:3], s[2:3], v[2:3]
	s_delay_alu instid0(VALU_DEP_4) | instskip(NEXT) | instid1(VALU_DEP_4)
	v_mul_f64_e32 v[4:5], s[2:3], v[4:5]
	v_mul_f64_e32 v[6:7], s[2:3], v[6:7]
	s_delay_alu instid0(VALU_DEP_4) | instskip(NEXT) | instid1(VALU_DEP_4)
	v_mul_f64_e32 v[8:9], s[2:3], v[8:9]
	v_cvt_f32_f64_e32 v2, v[2:3]
	s_delay_alu instid0(VALU_DEP_4) | instskip(NEXT) | instid1(VALU_DEP_4)
	v_cvt_f32_f64_e32 v3, v[4:5]
	v_cvt_f32_f64_e32 v4, v[6:7]
	s_delay_alu instid0(VALU_DEP_4)
	v_cvt_f32_f64_e32 v5, v[8:9]
	v_add_co_u32 v6, vcc_lo, v0, s6
	s_wait_alu 0xfffd
	v_add_co_ci_u32_e32 v7, vcc_lo, s7, v1, vcc_lo
	global_store_b64 v[0:1], v[2:3], off
	global_store_b64 v[6:7], v[4:5], off
.LBB0_23:
	s_nop 0
	s_sendmsg sendmsg(MSG_DEALLOC_VGPRS)
	s_endpgm
	.section	.rodata,"a",@progbits
	.p2align	6, 0x0
	.amdhsa_kernel bluestein_single_back_len1274_dim1_sp_op_CI_CI
		.amdhsa_group_segment_fixed_size 10192
		.amdhsa_private_segment_fixed_size 0
		.amdhsa_kernarg_size 104
		.amdhsa_user_sgpr_count 2
		.amdhsa_user_sgpr_dispatch_ptr 0
		.amdhsa_user_sgpr_queue_ptr 0
		.amdhsa_user_sgpr_kernarg_segment_ptr 1
		.amdhsa_user_sgpr_dispatch_id 0
		.amdhsa_user_sgpr_private_segment_size 0
		.amdhsa_wavefront_size32 1
		.amdhsa_uses_dynamic_stack 0
		.amdhsa_enable_private_segment 0
		.amdhsa_system_sgpr_workgroup_id_x 1
		.amdhsa_system_sgpr_workgroup_id_y 0
		.amdhsa_system_sgpr_workgroup_id_z 0
		.amdhsa_system_sgpr_workgroup_info 0
		.amdhsa_system_vgpr_workitem_id 0
		.amdhsa_next_free_vgpr 227
		.amdhsa_next_free_sgpr 18
		.amdhsa_reserve_vcc 1
		.amdhsa_float_round_mode_32 0
		.amdhsa_float_round_mode_16_64 0
		.amdhsa_float_denorm_mode_32 3
		.amdhsa_float_denorm_mode_16_64 3
		.amdhsa_fp16_overflow 0
		.amdhsa_workgroup_processor_mode 1
		.amdhsa_memory_ordered 1
		.amdhsa_forward_progress 0
		.amdhsa_round_robin_scheduling 0
		.amdhsa_exception_fp_ieee_invalid_op 0
		.amdhsa_exception_fp_denorm_src 0
		.amdhsa_exception_fp_ieee_div_zero 0
		.amdhsa_exception_fp_ieee_overflow 0
		.amdhsa_exception_fp_ieee_underflow 0
		.amdhsa_exception_fp_ieee_inexact 0
		.amdhsa_exception_int_div_zero 0
	.end_amdhsa_kernel
	.text
.Lfunc_end0:
	.size	bluestein_single_back_len1274_dim1_sp_op_CI_CI, .Lfunc_end0-bluestein_single_back_len1274_dim1_sp_op_CI_CI
                                        ; -- End function
	.section	.AMDGPU.csdata,"",@progbits
; Kernel info:
; codeLenInByte = 13044
; NumSgprs: 20
; NumVgprs: 227
; ScratchSize: 0
; MemoryBound: 0
; FloatMode: 240
; IeeeMode: 1
; LDSByteSize: 10192 bytes/workgroup (compile time only)
; SGPRBlocks: 2
; VGPRBlocks: 28
; NumSGPRsForWavesPerEU: 20
; NumVGPRsForWavesPerEU: 227
; Occupancy: 6
; WaveLimiterHint : 1
; COMPUTE_PGM_RSRC2:SCRATCH_EN: 0
; COMPUTE_PGM_RSRC2:USER_SGPR: 2
; COMPUTE_PGM_RSRC2:TRAP_HANDLER: 0
; COMPUTE_PGM_RSRC2:TGID_X_EN: 1
; COMPUTE_PGM_RSRC2:TGID_Y_EN: 0
; COMPUTE_PGM_RSRC2:TGID_Z_EN: 0
; COMPUTE_PGM_RSRC2:TIDIG_COMP_CNT: 0
	.text
	.p2alignl 7, 3214868480
	.fill 96, 4, 3214868480
	.type	__hip_cuid_60432841d6ef526d,@object ; @__hip_cuid_60432841d6ef526d
	.section	.bss,"aw",@nobits
	.globl	__hip_cuid_60432841d6ef526d
__hip_cuid_60432841d6ef526d:
	.byte	0                               ; 0x0
	.size	__hip_cuid_60432841d6ef526d, 1

	.ident	"AMD clang version 19.0.0git (https://github.com/RadeonOpenCompute/llvm-project roc-6.4.0 25133 c7fe45cf4b819c5991fe208aaa96edf142730f1d)"
	.section	".note.GNU-stack","",@progbits
	.addrsig
	.addrsig_sym __hip_cuid_60432841d6ef526d
	.amdgpu_metadata
---
amdhsa.kernels:
  - .args:
      - .actual_access:  read_only
        .address_space:  global
        .offset:         0
        .size:           8
        .value_kind:     global_buffer
      - .actual_access:  read_only
        .address_space:  global
        .offset:         8
        .size:           8
        .value_kind:     global_buffer
      - .actual_access:  read_only
        .address_space:  global
        .offset:         16
        .size:           8
        .value_kind:     global_buffer
      - .actual_access:  read_only
        .address_space:  global
        .offset:         24
        .size:           8
        .value_kind:     global_buffer
      - .actual_access:  read_only
        .address_space:  global
        .offset:         32
        .size:           8
        .value_kind:     global_buffer
      - .offset:         40
        .size:           8
        .value_kind:     by_value
      - .address_space:  global
        .offset:         48
        .size:           8
        .value_kind:     global_buffer
      - .address_space:  global
        .offset:         56
        .size:           8
        .value_kind:     global_buffer
      - .address_space:  global
        .offset:         64
        .size:           8
        .value_kind:     global_buffer
      - .address_space:  global
        .offset:         72
        .size:           8
        .value_kind:     global_buffer
      - .offset:         80
        .size:           4
        .value_kind:     by_value
      - .address_space:  global
        .offset:         88
        .size:           8
        .value_kind:     global_buffer
      - .address_space:  global
        .offset:         96
        .size:           8
        .value_kind:     global_buffer
    .group_segment_fixed_size: 10192
    .kernarg_segment_align: 8
    .kernarg_segment_size: 104
    .language:       OpenCL C
    .language_version:
      - 2
      - 0
    .max_flat_workgroup_size: 182
    .name:           bluestein_single_back_len1274_dim1_sp_op_CI_CI
    .private_segment_fixed_size: 0
    .sgpr_count:     20
    .sgpr_spill_count: 0
    .symbol:         bluestein_single_back_len1274_dim1_sp_op_CI_CI.kd
    .uniform_work_group_size: 1
    .uses_dynamic_stack: false
    .vgpr_count:     227
    .vgpr_spill_count: 0
    .wavefront_size: 32
    .workgroup_processor_mode: 1
amdhsa.target:   amdgcn-amd-amdhsa--gfx1201
amdhsa.version:
  - 1
  - 2
...

	.end_amdgpu_metadata
